;; amdgpu-corpus repo=ROCm/rocFFT kind=compiled arch=gfx1030 opt=O3
	.text
	.amdgcn_target "amdgcn-amd-amdhsa--gfx1030"
	.amdhsa_code_object_version 6
	.protected	bluestein_single_back_len816_dim1_sp_op_CI_CI ; -- Begin function bluestein_single_back_len816_dim1_sp_op_CI_CI
	.globl	bluestein_single_back_len816_dim1_sp_op_CI_CI
	.p2align	8
	.type	bluestein_single_back_len816_dim1_sp_op_CI_CI,@function
bluestein_single_back_len816_dim1_sp_op_CI_CI: ; @bluestein_single_back_len816_dim1_sp_op_CI_CI
; %bb.0:
	s_load_dwordx4 s[0:3], s[4:5], 0x28
	v_mul_u32_u24_e32 v1, 0x506, v0
	v_mov_b32_e32 v57, 0
	v_lshrrev_b32_e32 v1, 16, v1
	v_add_nc_u32_e32 v56, s6, v1
	s_waitcnt lgkmcnt(0)
	v_cmp_gt_u64_e32 vcc_lo, s[0:1], v[56:57]
	s_and_saveexec_b32 s0, vcc_lo
	s_cbranch_execz .LBB0_23
; %bb.1:
	v_mul_lo_u16 v1, v1, 51
	s_clause 0x1
	s_load_dwordx2 s[12:13], s[4:5], 0x0
	s_load_dwordx2 s[14:15], s[4:5], 0x38
	v_sub_nc_u16 v0, v0, v1
	v_and_b32_e32 v120, 0xffff, v0
	v_cmp_gt_u16_e32 vcc_lo, 48, v0
	v_lshlrev_b32_e32 v116, 3, v120
	v_or_b32_e32 v119, 0xc0, v120
	v_or_b32_e32 v118, 0x180, v120
	;; [unrolled: 1-line block ×4, first 2 shown]
	s_and_saveexec_b32 s1, vcc_lo
	s_cbranch_execz .LBB0_3
; %bb.2:
	s_load_dwordx2 s[6:7], s[4:5], 0x18
	s_waitcnt lgkmcnt(0)
	v_add_co_u32 v54, s0, s12, v116
	v_add_co_ci_u32_e64 v55, null, s13, 0, s0
	v_lshlrev_b32_e32 v30, 3, v118
	v_lshlrev_b32_e32 v32, 3, v117
	;; [unrolled: 1-line block ×3, first 2 shown]
	v_add_nc_u32_e32 v73, 0x800, v116
	v_add_nc_u32_e32 v74, 0xc00, v116
	;; [unrolled: 1-line block ×3, first 2 shown]
	s_load_dwordx4 s[8:11], s[6:7], 0x0
	s_clause 0x2
	global_load_dwordx2 v[0:1], v116, s[12:13] offset:768
	global_load_dwordx2 v[2:3], v116, s[12:13] offset:1152
	;; [unrolled: 1-line block ×3, first 2 shown]
	s_waitcnt lgkmcnt(0)
	v_mad_u64_u32 v[6:7], null, s10, v56, 0
	v_mad_u64_u32 v[8:9], null, s8, v120, 0
	;; [unrolled: 1-line block ×9, first 2 shown]
	v_mov_b32_e32 v7, v18
	v_mad_u64_u32 v[21:22], null, s9, v118, v[13:14]
	v_mov_b32_e32 v9, v19
	v_mad_u64_u32 v[22:23], null, s9, v117, v[15:16]
	v_lshlrev_b64 v[6:7], 3, v[6:7]
	v_mov_b32_e32 v11, v20
	s_mul_i32 s0, s9, 0x180
	s_mul_hi_u32 s7, s8, 0x180
	v_mad_u64_u32 v[23:24], null, s9, v115, v[17:18]
	v_lshlrev_b64 v[8:9], 3, v[8:9]
	s_add_i32 s7, s7, s0
	v_add_co_u32 v26, s0, s2, v6
	v_lshlrev_b64 v[10:11], 3, v[10:11]
	v_add_co_ci_u32_e64 v27, s0, s3, v7, s0
	v_mov_b32_e32 v13, v21
	v_add_co_u32 v8, s0, v26, v8
	v_mov_b32_e32 v17, v23
	v_add_co_ci_u32_e64 v9, s0, v27, v9, s0
	v_lshlrev_b64 v[12:13], 3, v[12:13]
	v_add_co_u32 v10, s0, v26, v10
	s_mul_i32 s6, s8, 0x180
	v_mov_b32_e32 v15, v22
	v_add_co_ci_u32_e64 v11, s0, v27, v11, s0
	v_lshlrev_b64 v[6:7], 3, v[16:17]
	v_add_co_u32 v16, s0, v8, s6
	v_add_co_ci_u32_e64 v17, s0, s7, v9, s0
	v_lshlrev_b64 v[14:15], 3, v[14:15]
	v_add_co_u32 v12, s0, v26, v12
	v_add_co_ci_u32_e64 v13, s0, v27, v13, s0
	v_add_co_u32 v18, s0, v16, s6
	v_add_co_ci_u32_e64 v19, s0, s7, v17, s0
	;; [unrolled: 2-line block ×4, first 2 shown]
	s_mul_i32 s10, s9, 0x300
	s_mul_hi_u32 s16, s8, 0x300
	s_mulk_i32 s8, 0x300
	s_add_i32 s16, s16, s10
	v_add_co_u32 v22, s0, v20, s8
	v_add_co_ci_u32_e64 v23, s0, s16, v21, s0
	v_add_co_u32 v6, s0, v26, v6
	v_add_co_ci_u32_e64 v7, s0, v27, v7, s0
	s_clause 0x6
	global_load_dwordx2 v[12:13], v[12:13], off
	global_load_dwordx2 v[8:9], v[8:9], off
	;; [unrolled: 1-line block ×7, first 2 shown]
	v_add_co_u32 v22, s0, v22, s6
	v_add_co_ci_u32_e64 v23, s0, s7, v23, s0
	s_clause 0x1
	global_load_dwordx2 v[26:27], v116, s[12:13] offset:384
	global_load_dwordx2 v[28:29], v116, s[12:13]
	v_add_co_u32 v38, s0, v22, s6
	v_add_co_ci_u32_e64 v39, s0, s7, v23, s0
	global_load_dwordx2 v[30:31], v30, s[12:13]
	global_load_dwordx2 v[14:15], v[14:15], off
	global_load_dwordx2 v[32:33], v32, s[12:13]
	global_load_dwordx2 v[6:7], v[6:7], off
	global_load_dwordx2 v[34:35], v34, s[12:13]
	v_add_co_u32 v40, s0, v38, s8
	v_add_co_ci_u32_e64 v41, s0, s16, v39, s0
	v_add_co_u32 v42, s0, 0x800, v54
	v_add_co_ci_u32_e64 v43, s0, 0, v55, s0
	global_load_dwordx2 v[36:37], v116, s[12:13] offset:1920
	global_load_dwordx2 v[22:23], v[22:23], off
	global_load_dwordx2 v[38:39], v[38:39], off
	;; [unrolled: 1-line block ×3, first 2 shown]
	v_add_co_u32 v40, s0, v40, s6
	v_add_co_ci_u32_e64 v41, s0, s7, v41, s0
	s_clause 0x2
	global_load_dwordx2 v[46:47], v[42:43], off offset:256
	global_load_dwordx2 v[48:49], v[42:43], off offset:640
	;; [unrolled: 1-line block ×3, first 2 shown]
	v_add_co_u32 v52, s0, v40, s6
	v_add_co_ci_u32_e64 v53, s0, s7, v41, s0
	v_add_co_u32 v54, s0, 0x1000, v54
	v_add_co_ci_u32_e64 v55, s0, 0, v55, s0
	;; [unrolled: 2-line block ×3, first 2 shown]
	global_load_dwordx2 v[40:41], v[40:41], off
	global_load_dwordx2 v[42:43], v[42:43], off offset:1792
	global_load_dwordx2 v[52:53], v[52:53], off
	global_load_dwordx2 v[59:60], v[54:55], off offset:128
	global_load_dwordx2 v[61:62], v[57:58], off
	v_add_co_u32 v57, s0, v57, s6
	v_add_co_ci_u32_e64 v58, s0, s7, v58, s0
	global_load_dwordx2 v[63:64], v[54:55], off offset:896
	v_add_co_u32 v65, s0, v57, s6
	v_add_co_ci_u32_e64 v66, s0, s7, v58, s0
	global_load_dwordx2 v[57:58], v[57:58], off
	s_clause 0x1
	global_load_dwordx2 v[67:68], v[54:55], off offset:1280
	global_load_dwordx2 v[54:55], v[54:55], off offset:1664
	global_load_dwordx2 v[65:66], v[65:66], off
	s_waitcnt vmcnt(25)
	v_mul_f32_e32 v71, v11, v5
	v_mul_f32_e32 v72, v10, v5
	v_fmac_f32_e32 v71, v10, v4
	s_waitcnt vmcnt(22)
	v_mul_f32_e32 v69, v9, v29
	v_mul_f32_e32 v70, v8, v29
	s_waitcnt vmcnt(21)
	v_mul_f32_e32 v29, v13, v31
	v_mul_f32_e32 v76, v12, v31
	v_fma_f32 v72, v11, v4, -v72
	s_waitcnt vmcnt(17)
	v_mul_f32_e32 v5, v7, v35
	v_mul_f32_e32 v35, v6, v35
	v_fma_f32 v70, v9, v28, -v70
	v_fmac_f32_e32 v69, v8, v28
	v_mul_f32_e32 v8, v17, v27
	v_mul_f32_e32 v9, v16, v27
	v_fmac_f32_e32 v29, v12, v30
	v_fmac_f32_e32 v5, v6, v34
	v_mul_f32_e32 v10, v19, v1
	v_fma_f32 v6, v7, v34, -v35
	v_mul_f32_e32 v4, v18, v1
	v_mul_f32_e32 v1, v21, v3
	;; [unrolled: 1-line block ×3, first 2 shown]
	s_waitcnt vmcnt(16)
	v_mul_f32_e32 v3, v25, v37
	v_mul_f32_e32 v12, v24, v37
	v_fmac_f32_e32 v8, v16, v26
	v_fma_f32 v9, v17, v26, -v9
	v_fma_f32 v11, v19, v0, -v4
	v_fmac_f32_e32 v3, v24, v36
	v_fma_f32 v4, v25, v36, -v12
	v_fmac_f32_e32 v10, v18, v0
	v_fmac_f32_e32 v1, v20, v2
	v_fma_f32 v2, v21, v2, -v7
	ds_write2_b64 v116, v[69:70], v[8:9] offset1:48
	ds_write2_b64 v116, v[10:11], v[1:2] offset0:96 offset1:144
	ds_write2_b64 v116, v[71:72], v[3:4] offset0:192 offset1:240
	s_waitcnt vmcnt(10)
	v_mul_f32_e32 v4, v44, v51
	v_mul_f32_e32 v31, v15, v33
	;; [unrolled: 1-line block ×5, first 2 shown]
	v_fma_f32 v8, v45, v50, -v4
	s_waitcnt vmcnt(8)
	v_mul_f32_e32 v4, v40, v43
	v_mul_f32_e32 v2, v39, v49
	;; [unrolled: 1-line block ×5, first 2 shown]
	s_waitcnt vmcnt(6)
	v_mul_f32_e32 v11, v53, v60
	v_mul_f32_e32 v12, v52, v60
	v_fma_f32 v30, v13, v30, -v76
	s_waitcnt vmcnt(4)
	v_mul_f32_e32 v13, v62, v64
	v_fma_f32 v10, v41, v42, -v4
	v_mul_f32_e32 v4, v61, v64
	v_fmac_f32_e32 v31, v14, v32
	v_fma_f32 v32, v15, v32, -v33
	s_waitcnt vmcnt(2)
	v_mul_f32_e32 v15, v58, v68
	v_mul_f32_e32 v16, v57, v68
	s_waitcnt vmcnt(0)
	v_mul_f32_e32 v17, v66, v55
	v_mul_f32_e32 v18, v65, v55
	v_fmac_f32_e32 v0, v22, v46
	v_fma_f32 v1, v23, v46, -v1
	v_fmac_f32_e32 v2, v38, v48
	v_fma_f32 v3, v39, v48, -v3
	v_fmac_f32_e32 v7, v44, v50
	v_fmac_f32_e32 v9, v40, v42
	v_fmac_f32_e32 v11, v52, v59
	v_fma_f32 v12, v53, v59, -v12
	v_fmac_f32_e32 v13, v61, v63
	v_fma_f32 v14, v62, v63, -v4
	v_fmac_f32_e32 v15, v57, v67
	;; [unrolled: 2-line block ×3, first 2 shown]
	v_fma_f32 v18, v66, v54, -v18
	ds_write2_b64 v73, v[0:1], v[2:3] offset0:32 offset1:80
	ds_write2_b64 v73, v[29:30], v[7:8] offset0:128 offset1:176
	;; [unrolled: 1-line block ×5, first 2 shown]
	ds_write_b64 v116, v[5:6] offset:6144
.LBB0_3:
	s_or_b32 exec_lo, exec_lo, s1
	s_clause 0x1
	s_load_dwordx2 s[0:1], s[4:5], 0x20
	s_load_dwordx2 s[2:3], s[4:5], 0x8
	v_mov_b32_e32 v0, 0
	v_mov_b32_e32 v1, 0
	s_waitcnt lgkmcnt(0)
	s_barrier
	buffer_gl0_inv
                                        ; implicit-def: $vgpr18
                                        ; implicit-def: $vgpr14
                                        ; implicit-def: $vgpr10
                                        ; implicit-def: $vgpr6
                                        ; implicit-def: $vgpr32
                                        ; implicit-def: $vgpr22
                                        ; implicit-def: $vgpr30
                                        ; implicit-def: $vgpr26
                                        ; kill: def $vgpr2 killed $sgpr0 killed $exec
	s_and_saveexec_b32 s4, vcc_lo
	s_cbranch_execz .LBB0_5
; %bb.4:
	v_add_nc_u32_e32 v4, 0x800, v116
	v_add_nc_u32_e32 v5, 0xc00, v116
	;; [unrolled: 1-line block ×3, first 2 shown]
	ds_read2_b64 v[0:3], v116 offset1:48
	ds_read2_b64 v[24:27], v116 offset0:96 offset1:144
	ds_read2_b64 v[28:31], v116 offset0:192 offset1:240
	;; [unrolled: 1-line block ×7, first 2 shown]
	ds_read_b64 v[32:33], v116 offset:6144
.LBB0_5:
	s_or_b32 exec_lo, exec_lo, s4
	s_waitcnt lgkmcnt(0)
	v_sub_f32_e32 v69, v3, v33
	v_sub_f32_e32 v73, v2, v32
	v_add_f32_e32 v34, v32, v2
	v_add_f32_e32 v38, v33, v3
	v_sub_f32_e32 v70, v25, v7
	v_mul_f32_e32 v50, 0xbeb8f4ab, v69
	v_mul_f32_e32 v59, 0xbeb8f4ab, v73
	v_add_f32_e32 v35, v6, v24
	v_sub_f32_e32 v77, v24, v6
	v_mul_f32_e32 v51, 0xbf2c7751, v70
	v_fmamk_f32 v37, v34, 0x3f6eb680, v50
	v_fma_f32 v39, 0x3f6eb680, v38, -v59
	v_add_f32_e32 v36, v7, v25
	v_mul_f32_e32 v62, 0xbf2c7751, v77
	v_sub_f32_e32 v71, v27, v5
	v_add_f32_e32 v40, v37, v0
	v_add_f32_e32 v41, v39, v1
	v_fmamk_f32 v39, v35, 0x3f3d2fb0, v51
	v_sub_f32_e32 v74, v26, v4
	v_fma_f32 v42, 0x3f3d2fb0, v36, -v62
	v_add_f32_e32 v37, v4, v26
	v_mul_f32_e32 v54, 0xbf65296c, v71
	v_add_f32_e32 v43, v39, v40
	v_add_f32_e32 v39, v5, v27
	v_mul_f32_e32 v63, 0xbf65296c, v74
	v_sub_f32_e32 v72, v29, v11
	v_add_f32_e32 v42, v42, v41
	v_fmamk_f32 v44, v37, 0x3ee437d1, v54
	v_sub_f32_e32 v78, v28, v10
	v_fma_f32 v45, 0x3ee437d1, v39, -v63
	v_add_f32_e32 v40, v10, v28
	v_mul_f32_e32 v57, 0xbf7ee86f, v72
	v_add_f32_e32 v41, v11, v29
	v_mul_f32_e32 v65, 0xbf7ee86f, v78
	v_add_f32_e32 v43, v44, v43
	v_add_f32_e32 v44, v45, v42
	v_sub_f32_e32 v75, v31, v9
	v_fmamk_f32 v45, v40, 0x3dbcf732, v57
	v_sub_f32_e32 v81, v30, v8
	v_fma_f32 v46, 0x3dbcf732, v41, -v65
	v_add_f32_e32 v42, v8, v30
	v_mul_f32_e32 v61, 0xbf763a35, v75
	v_add_f32_e32 v47, v45, v43
	v_add_f32_e32 v43, v9, v31
	v_mul_f32_e32 v66, 0xbf763a35, v81
	v_sub_f32_e32 v80, v21, v15
	v_add_f32_e32 v46, v46, v44
	v_fmamk_f32 v48, v42, 0xbe8c1d8e, v61
	v_sub_f32_e32 v83, v20, v14
	v_fma_f32 v49, 0xbe8c1d8e, v43, -v66
	v_add_f32_e32 v44, v14, v20
	v_mul_f32_e32 v60, 0xbf4c4adb, v80
	v_add_f32_e32 v45, v15, v21
	v_mul_f32_e32 v67, 0xbf4c4adb, v83
	v_add_f32_e32 v47, v48, v47
	v_add_f32_e32 v48, v49, v46
	v_sub_f32_e32 v79, v23, v13
	v_fmamk_f32 v49, v44, 0xbf1a4643, v60
	v_sub_f32_e32 v84, v22, v12
	v_fma_f32 v52, 0xbf1a4643, v45, -v67
	v_add_f32_e32 v46, v12, v22
	v_mul_f32_e32 v55, 0xbf06c442, v79
	v_add_f32_e32 v53, v49, v47
	v_add_f32_e32 v47, v13, v23
	v_mul_f32_e32 v68, 0xbf06c442, v84
	v_sub_f32_e32 v76, v17, v19
	v_sub_f32_e32 v82, v16, v18
	v_add_f32_e32 v52, v52, v48
	v_fmamk_f32 v85, v46, 0xbf59a7d5, v55
	v_fma_f32 v86, 0xbf59a7d5, v47, -v68
	v_add_f32_e32 v48, v18, v16
	v_add_f32_e32 v49, v19, v17
	v_mul_f32_e32 v58, 0xbe3c28d5, v76
	v_mul_f32_e32 v64, 0xbe3c28d5, v82
	v_add_f32_e32 v53, v85, v53
	v_add_f32_e32 v85, v86, v52
	v_fmamk_f32 v52, v48, 0xbf7ba420, v58
	v_fma_f32 v86, 0xbf7ba420, v49, -v64
	s_barrier
	buffer_gl0_inv
	v_add_f32_e32 v52, v52, v53
	v_add_f32_e32 v53, v86, v85
	s_and_saveexec_b32 s4, vcc_lo
	s_cbranch_execz .LBB0_7
; %bb.6:
	v_add_f32_e32 v3, v3, v1
	v_add_f32_e32 v2, v2, v0
	v_mul_f32_e32 v85, 0x3ee437d1, v38
	v_mul_f32_e32 v89, 0xbf1a4643, v36
	;; [unrolled: 1-line block ×3, first 2 shown]
	v_add_f32_e32 v3, v25, v3
	v_add_f32_e32 v2, v24, v2
	v_fmamk_f32 v91, v73, 0x3f65296c, v85
	v_fmamk_f32 v92, v77, 0x3f4c4adb, v89
	v_mul_f32_e32 v88, 0xbe8c1d8e, v41
	v_add_f32_e32 v3, v27, v3
	v_add_f32_e32 v2, v26, v2
	;; [unrolled: 1-line block ×3, first 2 shown]
	v_mul_f32_e32 v90, 0xbf65296c, v69
	v_fmamk_f32 v25, v74, 0xbe3c28d5, v87
	v_add_f32_e32 v3, v29, v3
	v_add_f32_e32 v2, v28, v2
	;; [unrolled: 1-line block ×3, first 2 shown]
	v_mul_f32_e32 v86, 0x3f3d2fb0, v43
	v_mul_f32_e32 v91, 0xbf4c4adb, v70
	v_add_f32_e32 v3, v31, v3
	v_add_f32_e32 v2, v30, v2
	v_fmamk_f32 v93, v78, 0xbf763a35, v88
	v_add_f32_e32 v25, v25, v92
	v_fmamk_f32 v26, v34, 0x3ee437d1, v90
	v_add_f32_e32 v3, v21, v3
	v_add_f32_e32 v2, v20, v2
	v_mul_f32_e32 v24, 0x3f6eb680, v45
	v_fmamk_f32 v27, v81, 0xbf2c7751, v86
	v_add_f32_e32 v25, v93, v25
	v_fmamk_f32 v28, v35, 0xbf1a4643, v91
	v_add_f32_e32 v26, v26, v0
	v_mul_f32_e32 v95, 0x3e3c28d5, v71
	v_add_f32_e32 v3, v23, v3
	v_add_f32_e32 v2, v22, v2
	;; [unrolled: 1-line block ×3, first 2 shown]
	v_fmamk_f32 v27, v83, 0x3eb8f4ab, v24
	v_add_f32_e32 v26, v28, v26
	v_mul_f32_e32 v21, 0x3dbcf732, v47
	v_fmamk_f32 v28, v37, 0xbf7ba420, v95
	v_mul_f32_e32 v96, 0x3f763a35, v72
	v_add_f32_e32 v3, v17, v3
	v_add_f32_e32 v2, v16, v2
	;; [unrolled: 1-line block ×3, first 2 shown]
	v_fmamk_f32 v25, v84, 0x3f7ee86f, v21
	v_add_f32_e32 v26, v28, v26
	v_fmamk_f32 v27, v40, 0xbe8c1d8e, v96
	v_mul_f32_e32 v97, 0x3f2c7751, v75
	v_mul_f32_e32 v16, 0xbe8c1d8e, v38
	v_add_f32_e32 v3, v19, v3
	v_add_f32_e32 v2, v18, v2
	;; [unrolled: 1-line block ×4, first 2 shown]
	v_fmamk_f32 v25, v42, 0x3f3d2fb0, v97
	v_mul_f32_e32 v98, 0xbeb8f4ab, v80
	v_fmamk_f32 v18, v73, 0x3f763a35, v16
	v_mul_f32_e32 v101, 0xbf59a7d5, v36
	v_add_f32_e32 v3, v13, v3
	v_add_f32_e32 v2, v12, v2
	;; [unrolled: 1-line block ×3, first 2 shown]
	v_fmamk_f32 v12, v44, 0x3f6eb680, v98
	v_add_f32_e32 v13, v18, v1
	v_fmamk_f32 v18, v77, 0xbf06c442, v101
	v_add_f32_e32 v3, v15, v3
	v_add_f32_e32 v2, v14, v2
	v_mul_f32_e32 v14, 0x3f3d2fb0, v39
	v_mul_f32_e32 v20, 0xbf59a7d5, v49
	v_add_f32_e32 v12, v12, v17
	v_add_f32_e32 v13, v18, v13
	;; [unrolled: 1-line block ×3, first 2 shown]
	v_fmamk_f32 v17, v74, 0xbf2c7751, v14
	v_add_f32_e32 v2, v8, v2
	v_mul_f32_e32 v102, 0x3ee437d1, v41
	v_fmamk_f32 v15, v82, 0x3f06c442, v20
	v_add_f32_e32 v9, v11, v3
	v_add_f32_e32 v8, v17, v13
	;; [unrolled: 1-line block ×3, first 2 shown]
	v_fmamk_f32 v10, v78, 0x3f65296c, v102
	v_mul_f32_e32 v17, 0xbf763a35, v69
	v_add_f32_e32 v3, v15, v22
	v_add_f32_e32 v5, v5, v9
	v_mul_f32_e32 v15, 0x3f06c442, v70
	v_add_f32_e32 v8, v10, v8
	v_fmamk_f32 v10, v34, 0xbe8c1d8e, v17
	v_add_f32_e32 v2, v4, v2
	v_mul_f32_e32 v103, 0xbf7ba420, v43
	v_add_f32_e32 v5, v7, v5
	v_fmamk_f32 v7, v35, 0xbf59a7d5, v15
	v_add_f32_e32 v4, v10, v0
	v_mul_f32_e32 v104, 0x3f2c7751, v71
	v_mul_f32_e32 v100, 0xbf7ee86f, v79
	v_fmamk_f32 v9, v81, 0x3e3c28d5, v103
	v_mul_f32_e32 v105, 0x3dbcf732, v45
	v_add_f32_e32 v4, v7, v4
	v_fmamk_f32 v7, v37, 0x3f3d2fb0, v104
	v_mul_f32_e32 v106, 0xbf65296c, v72
	v_fmamk_f32 v18, v46, 0x3dbcf732, v100
	v_mul_f32_e32 v99, 0xbf06c442, v76
	v_add_f32_e32 v8, v9, v8
	v_fmamk_f32 v9, v83, 0xbf7ee86f, v105
	v_mul_f32_e32 v107, 0x3f6eb680, v47
	v_add_f32_e32 v4, v7, v4
	;; [unrolled: 3-line block ×3, first 2 shown]
	v_fmamk_f32 v12, v48, 0xbf59a7d5, v99
	v_add_f32_e32 v6, v6, v2
	v_add_f32_e32 v8, v9, v8
	v_fmamk_f32 v9, v84, 0x3eb8f4ab, v107
	v_add_f32_e32 v7, v7, v4
	v_fmamk_f32 v10, v42, 0xbf7ba420, v108
	v_mul_f32_e32 v109, 0x3f7ee86f, v80
	v_add_f32_e32 v2, v12, v11
	v_add_f32_e32 v4, v32, v6
	;; [unrolled: 1-line block ×3, first 2 shown]
	v_mul_f32_e32 v11, 0xbf59a7d5, v38
	v_add_f32_e32 v7, v10, v7
	v_fmamk_f32 v8, v44, 0x3dbcf732, v109
	v_mul_f32_e32 v110, 0xbeb8f4ab, v79
	v_mul_f32_e32 v111, 0xbf1a4643, v49
	v_fmamk_f32 v9, v73, 0x3f06c442, v11
	v_mul_f32_e32 v10, 0x3ee437d1, v36
	v_add_f32_e32 v7, v8, v7
	v_fmamk_f32 v8, v46, 0x3f6eb680, v110
	v_fmamk_f32 v12, v82, 0x3f4c4adb, v111
	v_add_f32_e32 v9, v9, v1
	v_fmamk_f32 v13, v77, 0xbf65296c, v10
	v_mul_f32_e32 v18, 0x3dbcf732, v39
	v_add_f32_e32 v8, v8, v7
	v_add_f32_e32 v7, v12, v6
	v_mul_f32_e32 v12, 0xbf06c442, v69
	v_add_f32_e32 v6, v13, v9
	v_fmamk_f32 v9, v74, 0x3f7ee86f, v18
	v_mul_f32_e32 v13, 0xbf1a4643, v41
	v_mul_f32_e32 v22, 0x3f65296c, v70
	v_fmamk_f32 v19, v34, 0xbf59a7d5, v12
	v_mul_f32_e32 v113, 0x3f6eb680, v43
	v_add_f32_e32 v6, v9, v6
	v_fmamk_f32 v9, v78, 0xbf4c4adb, v13
	v_fmamk_f32 v23, v35, 0x3ee437d1, v22
	v_add_f32_e32 v19, v19, v0
	v_mul_f32_e32 v114, 0xbf7ee86f, v71
	v_mul_f32_e32 v121, 0xbf7ba420, v45
	v_add_f32_e32 v6, v9, v6
	v_fmamk_f32 v9, v81, 0x3eb8f4ab, v113
	v_add_f32_e32 v19, v23, v19
	v_fmamk_f32 v23, v37, 0x3dbcf732, v114
	v_mul_f32_e32 v122, 0x3f4c4adb, v72
	v_mul_f32_e32 v112, 0xbf4c4adb, v76
	v_add_f32_e32 v6, v9, v6
	v_fmamk_f32 v9, v83, 0x3e3c28d5, v121
	v_mul_f32_e32 v123, 0x3f3d2fb0, v47
	v_add_f32_e32 v19, v23, v19
	v_fmamk_f32 v23, v40, 0xbf1a4643, v122
	v_mul_f32_e32 v124, 0xbeb8f4ab, v75
	v_fmamk_f32 v25, v48, 0xbf1a4643, v112
	v_add_f32_e32 v9, v9, v6
	v_fmamk_f32 v26, v84, 0xbf2c7751, v123
	v_add_f32_e32 v19, v23, v19
	v_fmamk_f32 v23, v42, 0x3f6eb680, v124
	v_mul_f32_e32 v125, 0xbe3c28d5, v80
	v_mul_f32_e32 v30, 0xbe3c28d5, v73
	v_add_f32_e32 v6, v25, v8
	v_add_f32_e32 v8, v26, v9
	v_add_f32_e32 v9, v23, v19
	v_fmamk_f32 v19, v44, 0xbf7ba420, v125
	v_mul_f32_e32 v126, 0x3f2c7751, v79
	v_mul_f32_e32 v127, 0xbe8c1d8e, v49
	v_fmamk_f32 v23, v38, 0xbf7ba420, v30
	v_mul_f32_e32 v31, 0x3eb8f4ab, v77
	v_add_f32_e32 v9, v19, v9
	v_fmamk_f32 v19, v46, 0x3f3d2fb0, v126
	v_fmamk_f32 v25, v82, 0x3f763a35, v127
	v_add_f32_e32 v26, v23, v1
	v_fmamk_f32 v27, v36, 0x3f6eb680, v31
	v_mul_f32_e32 v23, 0xbf06c442, v74
	v_add_f32_e32 v28, v19, v9
	v_add_f32_e32 v9, v25, v8
	v_mul_f32_e32 v92, 0xbe3c28d5, v69
	v_add_f32_e32 v8, v27, v26
	v_fmamk_f32 v19, v39, 0xbf59a7d5, v23
	v_mul_f32_e32 v32, 0x3f2c7751, v78
	v_add_f32_e32 v5, v33, v5
	v_fma_f32 v25, 0xbf7ba420, v34, -v92
	v_mul_f32_e32 v93, 0x3eb8f4ab, v70
	v_add_f32_e32 v8, v19, v8
	v_fmamk_f32 v19, v41, 0x3f3d2fb0, v32
	v_mul_f32_e32 v33, 0xbf4c4adb, v81
	v_add_f32_e32 v26, v25, v0
	v_fma_f32 v27, 0x3f6eb680, v35, -v93
	v_mul_f32_e32 v94, 0xbf06c442, v71
	v_add_f32_e32 v8, v19, v8
	v_fmamk_f32 v19, v43, 0xbf1a4643, v33
	v_mul_f32_e32 v25, 0x3f65296c, v83
	v_mul_f32_e32 v128, 0xbf763a35, v76
	v_add_f32_e32 v29, v27, v26
	v_fma_f32 v129, 0xbf59a7d5, v37, -v94
	v_mul_f32_e32 v27, 0x3f2c7751, v72
	v_add_f32_e32 v8, v19, v8
	v_fmamk_f32 v19, v45, 0x3ee437d1, v25
	v_mul_f32_e32 v26, 0xbf763a35, v84
	v_fmac_f32_e32 v11, 0xbf06c442, v73
	v_add_f32_e32 v129, v129, v29
	v_fma_f32 v130, 0x3f3d2fb0, v40, -v27
	v_mul_f32_e32 v29, 0xbf4c4adb, v75
	v_fmamk_f32 v131, v48, 0xbe8c1d8e, v128
	v_add_f32_e32 v132, v19, v8
	v_fmamk_f32 v133, v47, 0xbe8c1d8e, v26
	v_fma_f32 v12, 0xbf59a7d5, v34, -v12
	v_add_f32_e32 v11, v11, v1
	v_fmac_f32_e32 v10, 0x3f65296c, v77
	v_add_f32_e32 v129, v130, v129
	v_fma_f32 v130, 0xbf1a4643, v42, -v29
	v_mul_f32_e32 v19, 0x3f65296c, v80
	v_add_f32_e32 v8, v131, v28
	v_add_f32_e32 v131, v133, v132
	;; [unrolled: 1-line block ×3, first 2 shown]
	v_fma_f32 v132, 0x3ee437d1, v35, -v22
	v_add_f32_e32 v10, v10, v11
	v_fmac_f32_e32 v18, 0xbf7ee86f, v74
	v_add_f32_e32 v129, v130, v129
	v_fma_f32 v130, 0x3ee437d1, v44, -v19
	v_mul_f32_e32 v28, 0xbf763a35, v79
	v_mul_f32_e32 v22, 0x3f7ee86f, v82
	v_add_f32_e32 v11, v132, v12
	v_fma_f32 v12, 0x3dbcf732, v37, -v114
	v_add_f32_e32 v10, v18, v10
	v_fmac_f32_e32 v13, 0x3f4c4adb, v78
	v_add_f32_e32 v129, v130, v129
	v_fma_f32 v130, 0xbe8c1d8e, v46, -v28
	v_fmamk_f32 v114, v49, 0x3dbcf732, v22
	v_mul_f32_e32 v18, 0x3f7ee86f, v76
	v_add_f32_e32 v12, v12, v11
	v_fma_f32 v122, 0xbf1a4643, v40, -v122
	v_add_f32_e32 v10, v13, v10
	v_fmac_f32_e32 v113, 0xbeb8f4ab, v81
	v_add_f32_e32 v129, v130, v129
	v_add_f32_e32 v11, v114, v131
	v_fma_f32 v13, 0x3dbcf732, v48, -v18
	v_add_f32_e32 v12, v122, v12
	v_fma_f32 v114, 0x3f6eb680, v42, -v124
	v_add_f32_e32 v113, v113, v10
	v_fmac_f32_e32 v121, 0xbe3c28d5, v83
	v_mul_f32_e32 v122, 0xbf4c4adb, v73
	v_add_f32_e32 v10, v13, v129
	v_add_f32_e32 v12, v114, v12
	v_fma_f32 v13, 0xbf7ba420, v44, -v125
	v_add_f32_e32 v113, v121, v113
	v_fmac_f32_e32 v123, 0x3f2c7751, v84
	v_fmamk_f32 v114, v38, 0xbf1a4643, v122
	v_mul_f32_e32 v121, 0x3f763a35, v77
	v_add_f32_e32 v12, v13, v12
	v_fma_f32 v13, 0x3f3d2fb0, v46, -v126
	v_add_f32_e32 v113, v123, v113
	v_add_f32_e32 v114, v114, v1
	v_fmamk_f32 v123, v36, 0xbe8c1d8e, v121
	v_mul_f32_e32 v124, 0xbeb8f4ab, v74
	v_mul_f32_e32 v125, 0xbf4c4adb, v69
	v_add_f32_e32 v12, v13, v12
	v_fma_f32 v126, 0xbe8c1d8e, v48, -v128
	v_add_f32_e32 v13, v123, v114
	v_fmamk_f32 v114, v39, 0x3f6eb680, v124
	v_mul_f32_e32 v123, 0xbf06c442, v78
	v_fma_f32 v128, 0xbf1a4643, v34, -v125
	v_mul_f32_e32 v129, 0x3f763a35, v70
	v_mul_f32_e32 v130, 0x3f7ee86f, v81
	v_add_f32_e32 v13, v114, v13
	v_fmamk_f32 v114, v41, 0xbf59a7d5, v123
	v_add_f32_e32 v128, v128, v0
	v_fma_f32 v131, 0xbe8c1d8e, v35, -v129
	v_mul_f32_e32 v132, 0xbeb8f4ab, v71
	v_mul_f32_e32 v133, 0xbf2c7751, v83
	v_add_f32_e32 v13, v114, v13
	v_fmamk_f32 v114, v43, 0x3dbcf732, v130
	v_add_f32_e32 v128, v131, v128
	v_fma_f32 v131, 0x3f6eb680, v37, -v132
	v_mul_f32_e32 v134, 0xbf06c442, v72
	v_fmac_f32_e32 v127, 0xbf763a35, v82
	v_add_f32_e32 v114, v114, v13
	v_fmamk_f32 v135, v45, 0x3f3d2fb0, v133
	v_mul_f32_e32 v136, 0xbe3c28d5, v84
	v_add_f32_e32 v128, v131, v128
	v_fma_f32 v131, 0xbf59a7d5, v40, -v134
	v_mul_f32_e32 v137, 0x3f7ee86f, v75
	v_add_f32_e32 v13, v127, v113
	v_add_f32_e32 v113, v135, v114
	v_fmamk_f32 v114, v47, 0xbf7ba420, v136
	v_add_f32_e32 v127, v131, v128
	v_fma_f32 v128, 0x3dbcf732, v42, -v137
	v_mul_f32_e32 v131, 0xbf2c7751, v80
	v_fmac_f32_e32 v16, 0xbf763a35, v73
	v_add_f32_e32 v12, v126, v12
	v_add_f32_e32 v113, v114, v113
	;; [unrolled: 1-line block ×3, first 2 shown]
	v_fma_f32 v126, 0x3f3d2fb0, v44, -v131
	v_mul_f32_e32 v127, 0xbe3c28d5, v79
	v_add_f32_e32 v16, v16, v1
	v_fmac_f32_e32 v101, 0x3f06c442, v77
	v_fma_f32 v17, 0xbe8c1d8e, v34, -v17
	v_add_f32_e32 v114, v126, v114
	v_fma_f32 v126, 0xbf7ba420, v46, -v127
	v_fmac_f32_e32 v14, 0x3f2c7751, v74
	v_add_f32_e32 v16, v101, v16
	v_add_f32_e32 v17, v17, v0
	v_fma_f32 v15, 0xbf59a7d5, v35, -v15
	v_add_f32_e32 v101, v126, v114
	v_mul_f32_e32 v114, 0x3f65296c, v82
	v_add_f32_e32 v14, v14, v16
	v_fmac_f32_e32 v102, 0xbf65296c, v78
	v_add_f32_e32 v15, v15, v17
	v_fma_f32 v17, 0x3f3d2fb0, v37, -v104
	v_fmamk_f32 v16, v49, 0x3ee437d1, v114
	v_mul_f32_e32 v104, 0x3f65296c, v76
	v_add_f32_e32 v14, v102, v14
	v_fmac_f32_e32 v103, 0xbe3c28d5, v81
	v_add_f32_e32 v17, v17, v15
	v_fma_f32 v106, 0x3ee437d1, v40, -v106
	v_add_f32_e32 v15, v16, v113
	v_fma_f32 v16, 0x3ee437d1, v48, -v104
	v_add_f32_e32 v103, v103, v14
	v_fmac_f32_e32 v105, 0x3f7ee86f, v83
	v_add_f32_e32 v17, v106, v17
	v_fma_f32 v102, 0xbf7ba420, v42, -v108
	v_mul_f32_e32 v106, 0xbf7ee86f, v73
	v_add_f32_e32 v14, v16, v101
	v_add_f32_e32 v101, v105, v103
	v_fmac_f32_e32 v107, 0xbeb8f4ab, v84
	v_add_f32_e32 v16, v102, v17
	v_fma_f32 v17, 0x3dbcf732, v44, -v109
	v_fmamk_f32 v102, v38, 0x3dbcf732, v106
	v_mul_f32_e32 v103, 0xbe3c28d5, v77
	v_add_f32_e32 v101, v107, v101
	v_mul_f32_e32 v107, 0xbf7ee86f, v69
	v_fmac_f32_e32 v85, 0xbf65296c, v73
	v_fma_f32 v90, 0x3ee437d1, v34, -v90
	v_add_f32_e32 v16, v17, v16
	v_fma_f32 v17, 0x3f6eb680, v46, -v110
	v_add_f32_e32 v102, v102, v1
	v_fmamk_f32 v105, v36, 0xbf7ba420, v103
	v_mul_f32_e32 v108, 0x3f763a35, v74
	v_fma_f32 v109, 0x3dbcf732, v34, -v107
	v_mul_f32_e32 v110, 0xbe3c28d5, v70
	v_add_f32_e32 v85, v85, v1
	v_fmac_f32_e32 v89, 0xbf4c4adb, v77
	v_add_f32_e32 v90, v90, v0
	v_fma_f32 v91, 0xbf1a4643, v35, -v91
	v_add_f32_e32 v16, v17, v16
	v_add_f32_e32 v17, v105, v102
	v_fmamk_f32 v102, v39, 0xbe8c1d8e, v108
	v_mul_f32_e32 v105, 0x3eb8f4ab, v78
	v_add_f32_e32 v109, v109, v0
	v_fma_f32 v126, 0xbf7ba420, v35, -v110
	v_mul_f32_e32 v128, 0x3f763a35, v71
	v_add_f32_e32 v85, v89, v85
	v_fmac_f32_e32 v87, 0x3e3c28d5, v74
	v_add_f32_e32 v89, v91, v90
	v_fma_f32 v90, 0xbf7ba420, v37, -v95
	v_fmac_f32_e32 v111, 0xbf4c4adb, v82
	v_add_f32_e32 v17, v102, v17
	v_fmamk_f32 v102, v41, 0x3f6eb680, v105
	v_mul_f32_e32 v113, 0xbf65296c, v81
	v_add_f32_e32 v109, v126, v109
	v_fma_f32 v126, 0xbe8c1d8e, v37, -v128
	v_mul_f32_e32 v138, 0x3eb8f4ab, v72
	v_add_f32_e32 v85, v87, v85
	v_fmac_f32_e32 v88, 0x3f763a35, v78
	v_add_f32_e32 v87, v90, v89
	v_fma_f32 v89, 0xbe8c1d8e, v40, -v96
	v_fma_f32 v112, 0xbf1a4643, v48, -v112
	v_add_f32_e32 v102, v102, v17
	v_fmamk_f32 v135, v43, 0x3ee437d1, v113
	v_add_f32_e32 v17, v111, v101
	v_mul_f32_e32 v101, 0xbf06c442, v83
	v_add_f32_e32 v109, v126, v109
	v_fma_f32 v111, 0x3f6eb680, v40, -v138
	v_mul_f32_e32 v126, 0xbf65296c, v75
	v_add_f32_e32 v85, v88, v85
	v_fmac_f32_e32 v86, 0x3f2c7751, v81
	v_add_f32_e32 v87, v89, v87
	v_fma_f32 v88, 0x3f3d2fb0, v42, -v97
	v_add_f32_e32 v102, v135, v102
	v_fmamk_f32 v135, v45, 0xbf59a7d5, v101
	v_add_f32_e32 v16, v112, v16
	v_mul_f32_e32 v112, 0x3f4c4adb, v84
	v_add_f32_e32 v109, v111, v109
	v_fma_f32 v111, 0x3ee437d1, v42, -v126
	v_add_f32_e32 v85, v86, v85
	v_fmac_f32_e32 v24, 0xbeb8f4ab, v83
	v_add_f32_e32 v86, v88, v87
	v_fma_f32 v87, 0x3f6eb680, v44, -v98
	v_add_f32_e32 v102, v135, v102
	v_fmamk_f32 v135, v47, 0xbf1a4643, v112
	v_add_f32_e32 v109, v111, v109
	v_mul_f32_e32 v111, 0xbf06c442, v80
	v_mul_f32_e32 v89, 0x3f2c7751, v82
	v_add_f32_e32 v24, v24, v85
	v_fmac_f32_e32 v21, 0xbf7ee86f, v84
	v_add_f32_e32 v87, v87, v86
	v_fma_f32 v97, 0x3dbcf732, v46, -v100
	v_mul_f32_e32 v73, 0xbf2c7751, v73
	v_fma_f32 v139, 0xbf59a7d5, v44, -v111
	v_mul_f32_e32 v140, 0x3f4c4adb, v79
	v_add_f32_e32 v90, v135, v102
	v_fmamk_f32 v88, v49, 0x3f3d2fb0, v89
	v_add_f32_e32 v21, v21, v24
	v_add_f32_e32 v24, v97, v87
	v_fmamk_f32 v87, v38, 0x3f3d2fb0, v73
	v_mul_f32_e32 v77, 0xbf7ee86f, v77
	v_add_f32_e32 v91, v139, v109
	v_fma_f32 v95, 0xbf1a4643, v46, -v140
	v_add_f32_e32 v86, v88, v90
	v_add_f32_e32 v87, v87, v1
	v_fmamk_f32 v90, v36, 0x3dbcf732, v77
	v_mul_f32_e32 v74, 0xbf4c4adb, v74
	v_add_f32_e32 v91, v95, v91
	v_mul_f32_e32 v95, 0x3f2c7751, v76
	v_fmac_f32_e32 v20, 0xbf06c442, v82
	v_mul_f32_e32 v69, 0xbf2c7751, v69
	v_add_f32_e32 v87, v90, v87
	v_fmamk_f32 v90, v39, 0xbf1a4643, v74
	v_mul_f32_e32 v78, 0xbe3c28d5, v78
	v_fma_f32 v96, 0x3f3d2fb0, v48, -v95
	v_add_f32_e32 v21, v20, v21
	v_fma_f32 v20, 0x3f3d2fb0, v34, -v69
	v_mul_f32_e32 v70, 0xbf7ee86f, v70
	v_add_f32_e32 v87, v90, v87
	v_fmamk_f32 v90, v41, 0xbf7ba420, v78
	v_mul_f32_e32 v81, 0x3f06c442, v81
	v_add_f32_e32 v85, v96, v91
	v_add_f32_e32 v20, v20, v0
	v_fma_f32 v91, 0x3dbcf732, v35, -v70
	v_mul_f32_e32 v71, 0xbf4c4adb, v71
	v_add_f32_e32 v87, v90, v87
	v_fmamk_f32 v90, v43, 0xbf59a7d5, v81
	v_mul_f32_e32 v83, 0x3f763a35, v83
	v_add_f32_e32 v20, v91, v20
	v_fma_f32 v91, 0xbf1a4643, v37, -v71
	v_mul_f32_e32 v72, 0xbe3c28d5, v72
	v_add_f32_e32 v87, v90, v87
	v_fmamk_f32 v90, v45, 0xbe8c1d8e, v83
	v_fma_f32 v88, 0xbf59a7d5, v48, -v99
	v_add_f32_e32 v91, v91, v20
	v_fma_f32 v96, 0xbf7ba420, v40, -v72
	v_mul_f32_e32 v75, 0x3f06c442, v75
	v_add_f32_e32 v87, v90, v87
	v_mul_f32_e32 v90, 0x3f6eb680, v38
	v_add_f32_e32 v20, v88, v24
	v_add_f32_e32 v24, v96, v91
	v_fma_f32 v88, 0xbf59a7d5, v42, -v75
	v_mul_f32_e32 v80, 0x3f763a35, v80
	v_mul_f32_e32 v84, 0x3f65296c, v84
	;; [unrolled: 1-line block ×3, first 2 shown]
	v_add_f32_e32 v59, v59, v90
	v_add_f32_e32 v24, v88, v24
	v_fma_f32 v88, 0xbe8c1d8e, v44, -v80
	v_mul_f32_e32 v79, 0x3f65296c, v79
	v_fmamk_f32 v90, v47, 0x3ee437d1, v84
	v_add_f32_e32 v62, v62, v91
	v_add_f32_e32 v59, v59, v1
	;; [unrolled: 1-line block ×3, first 2 shown]
	v_fma_f32 v88, 0x3ee437d1, v46, -v79
	v_add_f32_e32 v87, v90, v87
	v_mul_f32_e32 v90, 0x3ee437d1, v39
	v_add_f32_e32 v59, v62, v59
	v_mul_f32_e32 v62, 0x3f6eb680, v34
	;; [unrolled: 2-line block ×4, first 2 shown]
	v_sub_f32_e32 v50, v62, v50
	v_mul_f32_e32 v76, 0x3eb8f4ab, v76
	v_add_f32_e32 v62, v65, v88
	v_add_f32_e32 v59, v63, v59
	v_mul_f32_e32 v63, 0xbe8c1d8e, v43
	v_sub_f32_e32 v51, v90, v51
	v_add_f32_e32 v50, v50, v0
	v_mul_f32_e32 v65, 0x3ee437d1, v37
	v_add_f32_e32 v59, v62, v59
	v_add_f32_e32 v62, v66, v63
	v_mul_f32_e32 v63, 0x3dbcf732, v40
	v_add_f32_e32 v50, v51, v50
	v_sub_f32_e32 v54, v65, v54
	v_mul_f32_e32 v65, 0xbf1a4643, v45
	v_add_f32_e32 v59, v62, v59
	v_fma_f32 v30, 0xbf7ba420, v38, -v30
	v_fma_f32 v31, 0x3f6eb680, v36, -v31
	v_add_f32_e32 v50, v54, v50
	v_sub_f32_e32 v54, v63, v57
	v_mul_f32_e32 v57, 0xbe8c1d8e, v42
	v_add_f32_e32 v62, v67, v65
	v_mul_f32_e32 v65, 0xbf59a7d5, v47
	v_fma_f32 v63, 0x3f6eb680, v48, -v76
	v_add_f32_e32 v54, v54, v50
	v_sub_f32_e32 v57, v57, v61
	v_add_f32_e32 v59, v62, v59
	v_mul_f32_e32 v61, 0xbf1a4643, v44
	v_add_f32_e32 v62, v68, v65
	v_add_f32_e32 v50, v63, v24
	;; [unrolled: 1-line block ×4, first 2 shown]
	v_sub_f32_e32 v54, v61, v60
	v_add_f32_e32 v57, v62, v59
	v_mul_f32_e32 v59, 0xbf59a7d5, v46
	v_fmac_f32_e32 v92, 0xbf7ba420, v34
	v_add_f32_e32 v30, v31, v30
	v_add_f32_e32 v24, v54, v24
	v_fmac_f32_e32 v93, 0x3f6eb680, v35
	v_sub_f32_e32 v54, v59, v55
	v_add_f32_e32 v31, v92, v0
	v_fma_f32 v23, 0xbf59a7d5, v39, -v23
	v_fmac_f32_e32 v94, 0xbf59a7d5, v37
	v_fmac_f32_e32 v27, 0x3f3d2fb0, v40
	v_add_f32_e32 v54, v54, v24
	v_mul_f32_e32 v24, 0xbf7ba420, v48
	v_add_f32_e32 v31, v93, v31
	v_add_f32_e32 v23, v23, v30
	v_fma_f32 v30, 0x3f3d2fb0, v41, -v32
	v_fma_f32 v33, 0xbf1a4643, v43, -v33
	v_sub_f32_e32 v32, v24, v58
	v_add_f32_e32 v31, v94, v31
	v_fmac_f32_e32 v29, 0xbf1a4643, v42
	v_add_f32_e32 v30, v30, v23
	v_fma_f32 v25, 0x3ee437d1, v45, -v25
	v_add_f32_e32 v23, v32, v54
	v_fma_f32 v32, 0xbf1a4643, v38, -v122
	v_add_f32_e32 v27, v27, v31
	v_add_f32_e32 v30, v33, v30
	v_fmac_f32_e32 v19, 0x3ee437d1, v44
	v_fma_f32 v26, 0xbe8c1d8e, v47, -v26
	v_add_f32_e32 v31, v32, v1
	v_fma_f32 v32, 0xbe8c1d8e, v36, -v121
	v_add_f32_e32 v27, v29, v27
	v_add_f32_e32 v25, v25, v30
	v_fma_f32 v30, 0x3f6eb680, v39, -v124
	v_fmac_f32_e32 v125, 0xbf1a4643, v34
	v_add_f32_e32 v29, v32, v31
	v_add_f32_e32 v19, v19, v27
	v_fmac_f32_e32 v28, 0xbe8c1d8e, v46
	v_add_f32_e32 v25, v26, v25
	v_fma_f32 v27, 0xbf59a7d5, v41, -v123
	v_add_f32_e32 v26, v30, v29
	v_add_f32_e32 v29, v125, v0
	v_fmac_f32_e32 v129, 0xbe8c1d8e, v35
	v_add_f32_e32 v28, v28, v19
	v_fma_f32 v19, 0x3dbcf732, v38, -v106
	v_add_f32_e32 v26, v27, v26
	v_fma_f32 v27, 0x3dbcf732, v43, -v130
	v_add_f32_e32 v29, v129, v29
	v_fmac_f32_e32 v132, 0x3f6eb680, v37
	v_add_f32_e32 v19, v19, v1
	v_fma_f32 v30, 0xbf7ba420, v36, -v103
	v_fma_f32 v22, 0x3dbcf732, v49, -v22
	v_add_f32_e32 v26, v27, v26
	v_add_f32_e32 v27, v132, v29
	v_fmac_f32_e32 v134, 0xbf59a7d5, v40
	v_add_f32_e32 v29, v30, v19
	v_add_f32_e32 v19, v22, v25
	v_fma_f32 v22, 0xbe8c1d8e, v39, -v108
	v_fma_f32 v25, 0x3f3d2fb0, v45, -v133
	v_add_f32_e32 v27, v134, v27
	v_fmac_f32_e32 v137, 0x3dbcf732, v42
	v_fmac_f32_e32 v18, 0x3dbcf732, v48
	v_add_f32_e32 v22, v22, v29
	v_fma_f32 v29, 0x3f6eb680, v41, -v105
	v_add_f32_e32 v25, v25, v26
	v_add_f32_e32 v26, v137, v27
	v_fma_f32 v27, 0xbf7ba420, v47, -v136
	v_fmac_f32_e32 v131, 0x3f3d2fb0, v44
	v_add_f32_e32 v22, v29, v22
	v_fma_f32 v29, 0x3ee437d1, v43, -v113
	v_add_f32_e32 v18, v18, v28
	v_add_f32_e32 v25, v27, v25
	v_fma_f32 v27, 0xbf59a7d5, v45, -v101
	v_add_f32_e32 v26, v131, v26
	v_add_f32_e32 v22, v29, v22
	v_fmac_f32_e32 v127, 0xbf7ba420, v46
	v_fma_f32 v28, 0x3ee437d1, v49, -v114
	v_fmac_f32_e32 v107, 0x3dbcf732, v34
	v_fmac_f32_e32 v69, 0x3f3d2fb0, v34
	v_add_f32_e32 v22, v27, v22
	v_fma_f32 v27, 0xbf1a4643, v47, -v112
	v_add_f32_e32 v29, v127, v26
	v_add_f32_e32 v26, v28, v25
	;; [unrolled: 1-line block ×3, first 2 shown]
	v_fmac_f32_e32 v110, 0xbf7ba420, v35
	v_add_f32_e32 v22, v27, v22
	v_fma_f32 v27, 0x3f3d2fb0, v38, -v73
	v_add_f32_e32 v0, v69, v0
	v_fmac_f32_e32 v70, 0x3dbcf732, v35
	v_add_f32_e32 v28, v110, v28
	v_fmac_f32_e32 v128, 0xbe8c1d8e, v37
	v_add_f32_e32 v1, v27, v1
	v_fma_f32 v27, 0x3dbcf732, v36, -v77
	v_add_f32_e32 v0, v70, v0
	v_fmac_f32_e32 v71, 0xbf1a4643, v37
	v_add_f32_e32 v28, v128, v28
	;; [unrolled: 6-line block ×3, first 2 shown]
	v_fmac_f32_e32 v126, 0x3ee437d1, v42
	v_add_f32_e32 v1, v27, v1
	v_fma_f32 v27, 0xbf7ba420, v41, -v78
	v_add_f32_e32 v0, v72, v0
	v_fmac_f32_e32 v75, 0xbf59a7d5, v42
	v_mul_f32_e32 v60, 0xbf7ba420, v49
	v_add_f32_e32 v28, v126, v28
	v_add_f32_e32 v1, v27, v1
	v_fma_f32 v27, 0xbf59a7d5, v43, -v81
	v_fmac_f32_e32 v111, 0xbf59a7d5, v44
	v_add_f32_e32 v0, v75, v0
	v_fmac_f32_e32 v80, 0xbe8c1d8e, v44
	v_mul_f32_e32 v82, 0x3eb8f4ab, v82
	v_add_f32_e32 v1, v27, v1
	v_fma_f32 v27, 0xbe8c1d8e, v45, -v83
	v_add_f32_e32 v55, v64, v60
	v_fmac_f32_e32 v104, 0x3ee437d1, v48
	v_add_f32_e32 v28, v111, v28
	v_fmac_f32_e32 v140, 0xbf1a4643, v46
	v_add_f32_e32 v1, v27, v1
	v_fma_f32 v27, 0x3ee437d1, v47, -v84
	v_add_f32_e32 v0, v80, v0
	v_fmac_f32_e32 v79, 0x3ee437d1, v46
	v_mul_lo_u16 v30, v120, 17
	v_mov_b32_e32 v31, 3
	v_fmamk_f32 v88, v49, 0x3f6eb680, v82
	v_add_f32_e32 v24, v55, v57
	v_add_f32_e32 v25, v104, v29
	v_fma_f32 v29, 0x3f3d2fb0, v49, -v89
	v_add_f32_e32 v28, v140, v28
	v_fmac_f32_e32 v95, 0x3f3d2fb0, v48
	v_add_f32_e32 v27, v27, v1
	v_fma_f32 v32, 0x3f6eb680, v49, -v82
	v_add_f32_e32 v33, v79, v0
	v_fmac_f32_e32 v76, 0x3f6eb680, v48
	v_lshlrev_b32_sdwa v30, v31, v30 dst_sel:DWORD dst_unused:UNUSED_PAD src0_sel:DWORD src1_sel:WORD_0
	v_add_f32_e32 v51, v88, v87
	v_add_f32_e32 v1, v29, v22
	;; [unrolled: 1-line block ×5, first 2 shown]
	ds_write2_b64 v30, v[4:5], v[23:24] offset1:1
	ds_write2_b64 v30, v[50:51], v[20:21] offset0:2 offset1:3
	ds_write2_b64 v30, v[85:86], v[16:17] offset0:4 offset1:5
	;; [unrolled: 1-line block ×7, first 2 shown]
	ds_write_b64 v30, v[52:53] offset:128
.LBB0_7:
	s_or_b32 exec_lo, exec_lo, s4
	v_add_nc_u16 v0, v120, 51
	v_add_nc_u16 v1, v120, 0x66
	v_and_b32_e32 v4, 0xff, v120
	v_add_nc_u16 v79, v120, 0xcc
	v_add_nc_u16 v80, v120, 0xff
	v_and_b32_e32 v2, 0xff, v0
	v_and_b32_e32 v3, 0xff, v1
	v_mul_lo_u16 v4, 0xf1, v4
	v_and_b32_e32 v83, 0xff, v79
	v_mov_b32_e32 v11, 0xf0f1
	v_mul_lo_u16 v5, 0xf1, v2
	v_add_nc_u16 v2, v120, 0x99
	v_mul_lo_u16 v3, 0xf1, v3
	v_lshrrev_b16 v43, 12, v4
	v_add_nc_u16 v81, v120, 0x132
	v_lshrrev_b16 v41, 12, v5
	v_and_b32_e32 v7, 0xff, v2
	v_lshrrev_b16 v42, 12, v3
	v_mul_lo_u16 v8, v43, 17
	v_add_nc_u16 v82, v120, 0x165
	v_mul_lo_u16 v4, v41, 17
	v_mul_lo_u16 v7, 0xf1, v7
	;; [unrolled: 1-line block ×3, first 2 shown]
	v_mov_b32_e32 v40, 3
	v_sub_nc_u16 v44, v120, v8
	v_sub_nc_u16 v9, v0, v4
	v_lshrrev_b16 v47, 12, v7
	v_mul_lo_u16 v4, 0xf1, v83
	v_sub_nc_u16 v6, v1, v6
	v_mul_u32_u24_sdwa v14, v81, v11 dst_sel:DWORD dst_unused:UNUSED_PAD src0_sel:WORD_0 src1_sel:DWORD
	v_and_b32_e32 v45, 0xff, v9
	v_mul_lo_u16 v12, v47, 17
	v_lshrrev_b16 v48, 12, v4
	v_and_b32_e32 v46, 0xff, v6
	v_mul_u32_u24_sdwa v6, v80, v11 dst_sel:DWORD dst_unused:UNUSED_PAD src0_sel:WORD_0 src1_sel:DWORD
	v_mul_u32_u24_sdwa v11, v82, v11 dst_sel:DWORD dst_unused:UNUSED_PAD src0_sel:WORD_0 src1_sel:DWORD
	v_sub_nc_u16 v12, v2, v12
	v_mul_lo_u16 v13, v48, 17
	v_lshlrev_b32_sdwa v8, v40, v44 dst_sel:DWORD dst_unused:UNUSED_PAD src0_sel:DWORD src1_sel:BYTE_0
	v_lshrrev_b32_e32 v49, 20, v6
	v_lshlrev_b32_e32 v9, 3, v45
	v_and_b32_e32 v50, 0xff, v12
	v_lshlrev_b32_e32 v10, 3, v46
	v_lshrrev_b32_e32 v51, 20, v14
	v_sub_nc_u16 v13, v79, v13
	v_lshrrev_b32_e32 v55, 20, v11
	v_lshlrev_b32_e32 v12, 3, v50
	v_mul_lo_u16 v11, v49, 17
	s_load_dwordx4 s[4:7], s[0:1], 0x0
	s_waitcnt lgkmcnt(0)
	s_barrier
	buffer_gl0_inv
	s_clause 0x3
	global_load_dwordx2 v[63:64], v8, s[2:3]
	global_load_dwordx2 v[69:70], v9, s[2:3]
	;; [unrolled: 1-line block ×4, first 2 shown]
	v_mul_lo_u16 v8, v51, 17
	v_and_b32_e32 v54, 0xff, v13
	v_mul_lo_u16 v13, v55, 17
	v_sub_nc_u16 v73, v80, v11
	v_lshlrev_b32_sdwa v121, v40, v120 dst_sel:DWORD dst_unused:UNUSED_PAD src0_sel:DWORD src1_sel:WORD_0
	v_sub_nc_u16 v74, v81, v8
	v_lshlrev_b32_e32 v14, 3, v54
	v_sub_nc_u16 v75, v82, v13
	v_lshlrev_b32_sdwa v8, v40, v73 dst_sel:DWORD dst_unused:UNUSED_PAD src0_sel:DWORD src1_sel:WORD_0
	v_add_nc_u32_e32 v77, 0x800, v121
	v_lshlrev_b32_sdwa v9, v40, v74 dst_sel:DWORD dst_unused:UNUSED_PAD src0_sel:DWORD src1_sel:WORD_0
	global_load_dwordx2 v[65:66], v14, s[2:3]
	v_lshlrev_b32_sdwa v10, v40, v75 dst_sel:DWORD dst_unused:UNUSED_PAD src0_sel:DWORD src1_sel:WORD_0
	s_clause 0x2
	global_load_dwordx2 v[61:62], v8, s[2:3]
	global_load_dwordx2 v[59:60], v9, s[2:3]
	;; [unrolled: 1-line block ×3, first 2 shown]
	v_add_nc_u32_e32 v24, 0xc00, v121
	v_add_nc_u32_e32 v78, 0x1000, v121
	ds_read2_b64 v[8:11], v121 offset1:51
	ds_read2_b64 v[12:15], v121 offset0:102 offset1:153
	ds_read2_b64 v[16:19], v121 offset0:204 offset1:255
	;; [unrolled: 1-line block ×7, first 2 shown]
	v_mul_lo_u16 v41, v41, 34
	v_mov_b32_e32 v76, 34
	v_mad_u16 v43, v43, 34, v44
	v_mad_u16 v44, v49, 34, v73
	;; [unrolled: 1-line block ×4, first 2 shown]
	v_and_b32_e32 v41, 0xfe, v41
	v_mul_u32_u24_sdwa v42, v42, v76 dst_sel:DWORD dst_unused:UNUSED_PAD src0_sel:WORD_0 src1_sel:DWORD
	v_lshlrev_b32_sdwa v130, v40, v43 dst_sel:DWORD dst_unused:UNUSED_PAD src0_sel:DWORD src1_sel:BYTE_0
	v_lshlrev_b32_sdwa v125, v40, v44 dst_sel:DWORD dst_unused:UNUSED_PAD src0_sel:DWORD src1_sel:WORD_0
	v_lshlrev_b32_sdwa v124, v40, v49 dst_sel:DWORD dst_unused:UNUSED_PAD src0_sel:DWORD src1_sel:WORD_0
	;; [unrolled: 1-line block ×3, first 2 shown]
	v_add_lshl_u32 v129, v41, v45, 3
	v_mul_u32_u24_sdwa v47, v47, v76 dst_sel:DWORD dst_unused:UNUSED_PAD src0_sel:WORD_0 src1_sel:DWORD
	v_mul_u32_u24_sdwa v48, v48, v76 dst_sel:DWORD dst_unused:UNUSED_PAD src0_sel:WORD_0 src1_sel:DWORD
	v_add_lshl_u32 v128, v42, v46, 3
	s_waitcnt vmcnt(0) lgkmcnt(0)
	s_barrier
	v_add_lshl_u32 v127, v47, v50, 3
	v_add_lshl_u32 v126, v48, v54, 3
	buffer_gl0_inv
	v_add_nc_u32_e32 v84, 0x400, v121
	v_cmp_gt_u16_e64 s0, 17, v120
                                        ; implicit-def: $vgpr75
	v_mul_f32_e32 v40, v21, v64
	v_mul_f32_e32 v41, v20, v64
	v_mul_f32_e32 v42, v22, v70
	v_mul_f32_e32 v43, v25, v72
	v_mul_f32_e32 v44, v24, v72
	v_fma_f32 v20, v20, v63, -v40
	v_fmac_f32_e32 v41, v21, v63
	v_mul_f32_e32 v40, v23, v70
	v_mul_f32_e32 v45, v27, v68
	v_mul_f32_e32 v46, v26, v68
	v_sub_f32_e32 v20, v8, v20
	v_sub_f32_e32 v21, v9, v41
	v_fma_f32 v22, v22, v69, -v40
	v_fmac_f32_e32 v42, v23, v69
	v_fma_f32 v24, v24, v71, -v43
	v_mul_f32_e32 v47, v29, v66
	v_mul_f32_e32 v48, v28, v66
	;; [unrolled: 1-line block ×8, first 2 shown]
	v_fmac_f32_e32 v44, v25, v71
	v_fma_f32 v26, v26, v67, -v45
	v_fmac_f32_e32 v46, v27, v67
	v_fma_f32 v28, v28, v65, -v47
	;; [unrolled: 2-line block ×5, first 2 shown]
	v_fmac_f32_e32 v73, v39, v57
	v_fma_f32 v8, v8, 2.0, -v20
	v_fma_f32 v9, v9, 2.0, -v21
	v_sub_f32_e32 v22, v10, v22
	v_sub_f32_e32 v23, v11, v42
	;; [unrolled: 1-line block ×14, first 2 shown]
	ds_write2_b64 v130, v[8:9], v[20:21] offset1:17
	v_fma_f32 v8, v10, 2.0, -v22
	v_fma_f32 v9, v11, 2.0, -v23
	;; [unrolled: 1-line block ×14, first 2 shown]
	ds_write2_b64 v129, v[8:9], v[22:23] offset1:17
	ds_write2_b64 v128, v[10:11], v[24:25] offset1:17
	;; [unrolled: 1-line block ×7, first 2 shown]
	s_waitcnt lgkmcnt(0)
	s_barrier
	buffer_gl0_inv
	ds_read2_b64 v[28:31], v121 offset1:51
	ds_read2_b64 v[24:27], v84 offset0:76 offset1:144
	ds_read2_b64 v[36:39], v78 offset0:32 offset1:83
	;; [unrolled: 1-line block ×6, first 2 shown]
	ds_read_b64 v[73:74], v121 offset:5984
	s_and_saveexec_b32 s1, s0
	s_cbranch_execz .LBB0_9
; %bb.8:
	ds_read_b64 v[54:55], v121 offset:2040
	ds_read_b64 v[52:53], v121 offset:4216
	;; [unrolled: 1-line block ×3, first 2 shown]
.LBB0_9:
	s_or_b32 exec_lo, exec_lo, s1
	v_lshrrev_b16 v84, 13, v5
	v_add_co_u32 v5, s1, 0xffffffde, v120
	v_add_co_ci_u32_e64 v8, null, 0, -1, s1
	v_cmp_gt_u16_e64 s1, 34, v120
	v_mul_lo_u16 v9, v84, 34
	v_lshrrev_b16 v85, 13, v3
	v_lshrrev_b16 v86, 13, v7
	;; [unrolled: 1-line block ×3, first 2 shown]
	v_cndmask_b32_e64 v78, v8, 0, s1
	v_cndmask_b32_e64 v77, v5, v120, s1
	v_sub_nc_u16 v0, v0, v9
	v_mul_lo_u16 v3, v85, 34
	v_mul_lo_u16 v5, v86, 34
	;; [unrolled: 1-line block ×3, first 2 shown]
	v_lshlrev_b64 v[7:8], 4, v[77:78]
	v_and_b32_e32 v78, 0xff, v0
	v_sub_nc_u16 v3, v1, v3
	v_sub_nc_u16 v2, v2, v5
	v_mov_b32_e32 v91, 0x66
	v_add_co_u32 v0, s1, s2, v7
	v_add_co_ci_u32_e64 v1, s1, s3, v8, s1
	v_lshlrev_b32_e32 v5, 4, v78
	v_and_b32_e32 v88, 0xff, v3
	v_and_b32_e32 v89, 0xff, v2
	global_load_dwordx4 v[20:23], v[0:1], off offset:136
	v_mul_u32_u24_sdwa v84, v84, v91 dst_sel:DWORD dst_unused:UNUSED_PAD src0_sel:WORD_0 src1_sel:DWORD
	global_load_dwordx4 v[12:15], v5, s[2:3] offset:136
	v_sub_nc_u16 v0, v79, v4
	v_lshlrev_b32_e32 v1, 4, v88
	v_lshlrev_b32_e32 v2, 4, v89
	v_mul_u32_u24_sdwa v85, v85, v91 dst_sel:DWORD dst_unused:UNUSED_PAD src0_sel:WORD_0 src1_sel:DWORD
	v_mul_u32_u24_sdwa v87, v87, v91 dst_sel:DWORD dst_unused:UNUSED_PAD src0_sel:WORD_0 src1_sel:DWORD
	v_and_b32_e32 v90, 0xff, v0
	v_lshrrev_b32_e32 v0, 21, v6
	s_clause 0x1
	global_load_dwordx4 v[16:19], v1, s[2:3] offset:136
	global_load_dwordx4 v[8:11], v2, s[2:3] offset:136
	v_mul_u32_u24_sdwa v86, v86, v91 dst_sel:DWORD dst_unused:UNUSED_PAD src0_sel:WORD_0 src1_sel:DWORD
	v_lshlrev_b32_e32 v1, 4, v90
	v_mul_lo_u16 v0, v0, 34
	v_add_lshl_u32 v134, v84, v78, 3
	v_add_lshl_u32 v133, v85, v88, 3
	;; [unrolled: 1-line block ×3, first 2 shown]
	global_load_dwordx4 v[4:7], v1, s[2:3] offset:136
	v_sub_nc_u16 v122, v80, v0
	v_add_lshl_u32 v132, v86, v89, 3
	v_lshlrev_b16 v0, 4, v122
	v_and_b32_e32 v0, 0xffff, v0
	v_add_co_u32 v0, s1, s2, v0
	v_add_co_ci_u32_e64 v1, null, s3, 0, s1
	v_cmp_lt_u16_e64 s1, 33, v120
	global_load_dwordx4 v[0:3], v[0:1], off offset:136
	s_waitcnt vmcnt(0) lgkmcnt(0)
	v_cndmask_b32_e64 v92, 0, 0x66, s1
	s_barrier
	buffer_gl0_inv
	v_add_lshl_u32 v135, v77, v92, 3
	v_mul_f32_e32 v77, v27, v21
	v_mul_f32_e32 v78, v26, v21
	;; [unrolled: 1-line block ×8, first 2 shown]
	v_fma_f32 v77, v26, v20, -v77
	v_fmac_f32_e32 v78, v27, v20
	v_mul_f32_e32 v90, v43, v17
	v_mul_f32_e32 v92, v45, v19
	;; [unrolled: 1-line block ×11, first 2 shown]
	v_fma_f32 v84, v36, v22, -v84
	v_fmac_f32_e32 v85, v37, v22
	v_fmac_f32_e32 v87, v41, v12
	v_fma_f32 v41, v38, v14, -v88
	v_fma_f32 v38, v42, v16, -v90
	;; [unrolled: 1-line block ×3, first 2 shown]
	v_fmac_f32_e32 v93, v45, v18
	v_mul_f32_e32 v101, v73, v7
	v_fma_f32 v40, v40, v12, -v86
	v_fmac_f32_e32 v89, v39, v14
	v_fmac_f32_e32 v91, v43, v16
	v_fma_f32 v39, v48, v8, -v94
	v_fmac_f32_e32 v95, v49, v8
	v_fma_f32 v44, v46, v10, -v96
	;; [unrolled: 2-line block ×4, first 2 shown]
	v_add_f32_e32 v47, v28, v77
	v_add_f32_e32 v48, v77, v84
	v_mul_f32_e32 v36, v53, v1
	v_mul_f32_e32 v27, v52, v1
	v_mul_f32_e32 v45, v76, v3
	v_mul_f32_e32 v26, v75, v3
	v_sub_f32_e32 v49, v78, v85
	v_add_f32_e32 v50, v29, v78
	v_add_f32_e32 v51, v78, v85
	v_sub_f32_e32 v73, v77, v84
	v_fma_f32 v37, v52, v0, -v36
	v_fmac_f32_e32 v27, v53, v0
	v_fma_f32 v36, v75, v2, -v45
	v_fmac_f32_e32 v26, v76, v2
	v_add_f32_e32 v77, v32, v38
	v_add_f32_e32 v78, v38, v42
	v_fmac_f32_e32 v101, v74, v6
	v_add_f32_e32 v52, v40, v41
	v_add_f32_e32 v75, v87, v89
	v_sub_f32_e32 v90, v38, v42
	v_add_f32_e32 v42, v77, v42
	v_fma_f32 v32, -0.5, v78, v32
	v_add_f32_e32 v77, v37, v36
	v_add_f32_e32 v78, v27, v26
	v_add_f32_e32 v88, v91, v93
	v_add_f32_e32 v92, v39, v44
	v_sub_f32_e32 v94, v95, v97
	v_add_f32_e32 v96, v35, v95
	v_add_f32_e32 v95, v95, v97
	;; [unrolled: 1-line block ×3, first 2 shown]
	v_sub_f32_e32 v53, v87, v89
	v_add_f32_e32 v74, v31, v87
	v_sub_f32_e32 v76, v40, v41
	v_sub_f32_e32 v86, v91, v93
	v_add_f32_e32 v87, v33, v91
	v_add_f32_e32 v91, v34, v39
	v_sub_f32_e32 v98, v39, v44
	v_add_f32_e32 v102, v43, v46
	v_sub_f32_e32 v103, v99, v101
	v_add_f32_e32 v104, v25, v99
	v_add_f32_e32 v99, v99, v101
	;; [unrolled: 1-line block ×3, first 2 shown]
	v_fma_f32 v28, -0.5, v48, v28
	v_add_f32_e32 v39, v50, v85
	v_fma_f32 v29, -0.5, v51, v29
	v_fma_f32 v30, -0.5, v52, v30
	v_fmac_f32_e32 v31, -0.5, v75
	v_sub_f32_e32 v84, v27, v26
	v_sub_f32_e32 v85, v37, v36
	v_fma_f32 v77, -0.5, v77, v54
	v_fma_f32 v78, -0.5, v78, v55
	;; [unrolled: 1-line block ×4, first 2 shown]
	v_fmac_f32_e32 v35, -0.5, v95
	v_add_f32_e32 v100, v24, v43
	v_sub_f32_e32 v105, v43, v46
	v_add_f32_e32 v40, v45, v41
	v_add_f32_e32 v41, v74, v89
	v_fma_f32 v24, -0.5, v102, v24
	v_fmac_f32_e32 v25, -0.5, v99
	v_fmamk_f32 v48, v49, 0x3f5db3d7, v28
	v_fmac_f32_e32 v28, 0xbf5db3d7, v49
	v_fmamk_f32 v49, v73, 0xbf5db3d7, v29
	v_fmamk_f32 v50, v53, 0x3f5db3d7, v30
	;; [unrolled: 1-line block ×4, first 2 shown]
	v_fmac_f32_e32 v77, 0xbf5db3d7, v84
	v_fmamk_f32 v112, v85, 0xbf5db3d7, v78
	v_fmac_f32_e32 v78, 0x3f5db3d7, v85
	v_fmac_f32_e32 v29, 0x3f5db3d7, v73
	;; [unrolled: 1-line block ×4, first 2 shown]
	v_add_f32_e32 v43, v87, v93
	v_fmamk_f32 v52, v86, 0x3f5db3d7, v32
	v_fmamk_f32 v53, v90, 0xbf5db3d7, v33
	v_fmac_f32_e32 v32, 0xbf5db3d7, v86
	v_fmac_f32_e32 v33, 0x3f5db3d7, v90
	v_add_f32_e32 v44, v91, v44
	v_add_f32_e32 v45, v96, v97
	v_fmamk_f32 v73, v94, 0x3f5db3d7, v34
	v_fmamk_f32 v74, v98, 0xbf5db3d7, v35
	v_add_f32_e32 v46, v100, v46
	v_add_f32_e32 v47, v104, v101
	v_fmac_f32_e32 v34, 0xbf5db3d7, v94
	v_fmac_f32_e32 v35, 0x3f5db3d7, v98
	v_fmamk_f32 v75, v103, 0x3f5db3d7, v24
	v_fmac_f32_e32 v24, 0xbf5db3d7, v103
	v_fmamk_f32 v76, v105, 0xbf5db3d7, v25
	v_fmac_f32_e32 v25, 0x3f5db3d7, v105
	ds_write2_b64 v135, v[38:39], v[48:49] offset1:34
	ds_write_b64 v135, v[28:29] offset:544
	ds_write2_b64 v134, v[40:41], v[50:51] offset1:34
	ds_write_b64 v134, v[30:31] offset:544
	;; [unrolled: 2-line block ×5, first 2 shown]
	s_and_saveexec_b32 s1, s0
	s_cbranch_execz .LBB0_11
; %bb.10:
	v_mov_b32_e32 v24, 3
	v_add_f32_e32 v25, v55, v27
	v_add_f32_e32 v27, v54, v37
	v_lshlrev_b32_sdwa v28, v24, v122 dst_sel:DWORD dst_unused:UNUSED_PAD src0_sel:DWORD src1_sel:WORD_0
	v_add_f32_e32 v25, v25, v26
	v_add_f32_e32 v24, v27, v36
	v_add_nc_u32_e32 v26, 0x1000, v28
	ds_write2_b64 v26, v[24:25], v[111:112] offset0:202 offset1:236
	ds_write_b64 v28, v[77:78] offset:6256
.LBB0_11:
	s_or_b32 exec_lo, exec_lo, s1
	v_mul_lo_u16 v24, 0xa1, v83
	v_mov_b32_e32 v25, 0xa0a1
	s_waitcnt lgkmcnt(0)
	s_barrier
	buffer_gl0_inv
	v_lshrrev_b16 v24, 14, v24
	v_mul_u32_u24_sdwa v26, v80, v25 dst_sel:DWORD dst_unused:UNUSED_PAD src0_sel:WORD_0 src1_sel:DWORD
	v_mul_u32_u24_sdwa v27, v81, v25 dst_sel:DWORD dst_unused:UNUSED_PAD src0_sel:WORD_0 src1_sel:DWORD
	v_mul_u32_u24_sdwa v25, v82, v25 dst_sel:DWORD dst_unused:UNUSED_PAD src0_sel:WORD_0 src1_sel:DWORD
	s_clause 0x1
	global_load_dwordx2 v[73:74], v116, s[2:3] offset:680
	global_load_dwordx2 v[75:76], v116, s[2:3] offset:1088
	v_mul_lo_u16 v24, 0x66, v24
	v_lshrrev_b32_e32 v26, 22, v26
	v_lshrrev_b32_e32 v27, 22, v27
	v_mov_b32_e32 v28, 3
	v_lshrrev_b32_e32 v25, 22, v25
	v_sub_nc_u16 v24, v79, v24
	v_mul_lo_u16 v26, 0x66, v26
	v_mul_lo_u16 v27, 0x66, v27
	v_add_nc_u32_e32 v113, 0x800, v121
	v_add_nc_u32_e32 v140, 0xc00, v121
	v_lshlrev_b32_sdwa v138, v28, v24 dst_sel:DWORD dst_unused:UNUSED_PAD src0_sel:DWORD src1_sel:BYTE_0
	v_mul_lo_u16 v24, 0x66, v25
	v_sub_nc_u16 v25, v80, v26
	v_sub_nc_u16 v26, v81, v27
	v_add_nc_u32_e32 v114, 0x1000, v121
	global_load_dwordx2 v[83:84], v138, s[2:3] offset:680
	v_sub_nc_u16 v24, v82, v24
	v_lshlrev_b32_sdwa v139, v28, v25 dst_sel:DWORD dst_unused:UNUSED_PAD src0_sel:DWORD src1_sel:WORD_0
	v_lshlrev_b32_sdwa v137, v28, v26 dst_sel:DWORD dst_unused:UNUSED_PAD src0_sel:DWORD src1_sel:WORD_0
	v_add_co_u32 v97, s1, s2, v116
	v_lshlrev_b32_sdwa v136, v28, v24 dst_sel:DWORD dst_unused:UNUSED_PAD src0_sel:DWORD src1_sel:WORD_0
	v_add_co_ci_u32_e64 v98, null, s3, 0, s1
	s_clause 0x2
	global_load_dwordx2 v[85:86], v139, s[2:3] offset:680
	global_load_dwordx2 v[81:82], v137, s[2:3] offset:680
	;; [unrolled: 1-line block ×3, first 2 shown]
	ds_read2_b64 v[24:27], v121 offset1:51
	ds_read2_b64 v[28:31], v121 offset0:102 offset1:153
	ds_read2_b64 v[32:35], v121 offset0:204 offset1:255
	;; [unrolled: 1-line block ×7, first 2 shown]
	s_waitcnt vmcnt(0) lgkmcnt(0)
	s_barrier
	buffer_gl0_inv
	v_add_co_u32 v95, s1, 0x800, v97
	v_add_nc_u32_e32 v87, 0x800, v138
	v_add_co_ci_u32_e64 v96, s1, 0, v98, s1
	v_add_nc_u32_e32 v88, 0x800, v139
	v_add_nc_u32_e32 v89, 0x1000, v137
	;; [unrolled: 1-line block ×3, first 2 shown]
	v_mul_f32_e32 v91, v37, v74
	v_mul_f32_e32 v92, v36, v74
	;; [unrolled: 1-line block ×8, first 2 shown]
	v_fma_f32 v36, v36, v73, -v91
	v_fmac_f32_e32 v92, v37, v73
	v_fma_f32 v38, v38, v75, -v93
	v_fmac_f32_e32 v94, v39, v75
	v_fma_f32 v40, v40, v73, -v99
	v_fmac_f32_e32 v100, v41, v73
	v_fma_f32 v42, v42, v75, -v101
	v_fmac_f32_e32 v102, v43, v75
	v_sub_f32_e32 v36, v24, v36
	v_sub_f32_e32 v37, v25, v92
	;; [unrolled: 1-line block ×4, first 2 shown]
	v_mul_f32_e32 v91, v45, v84
	v_mul_f32_e32 v92, v44, v84
	v_sub_f32_e32 v40, v28, v40
	v_sub_f32_e32 v41, v29, v100
	;; [unrolled: 1-line block ×4, first 2 shown]
	v_fma_f32 v24, v24, 2.0, -v36
	v_fma_f32 v25, v25, 2.0, -v37
	;; [unrolled: 1-line block ×4, first 2 shown]
	ds_write2_b64 v121, v[36:37], v[38:39] offset0:102 offset1:153
	ds_write2_b64 v113, v[40:41], v[42:43] offset0:50 offset1:101
	ds_write2_b64 v121, v[24:25], v[26:27] offset1:51
	v_fma_f32 v24, v44, v83, -v91
	v_fmac_f32_e32 v92, v45, v83
	v_mul_f32_e32 v25, v47, v86
	v_mul_f32_e32 v36, v46, v86
	v_mul_f32_e32 v26, v53, v82
	v_mul_f32_e32 v37, v52, v82
	v_mul_f32_e32 v27, v55, v80
	v_mul_f32_e32 v39, v54, v80
	v_fma_f32 v38, v46, v85, -v25
	v_fmac_f32_e32 v36, v47, v85
	v_sub_f32_e32 v24, v32, v24
	v_sub_f32_e32 v25, v33, v92
	v_fma_f32 v28, v28, 2.0, -v40
	v_fma_f32 v40, v52, v81, -v26
	v_fmac_f32_e32 v37, v53, v81
	v_fma_f32 v29, v29, 2.0, -v41
	v_fma_f32 v41, v54, v79, -v27
	v_fmac_f32_e32 v39, v55, v79
	v_fma_f32 v26, v32, 2.0, -v24
	v_fma_f32 v27, v33, 2.0, -v25
	v_sub_f32_e32 v32, v34, v38
	v_sub_f32_e32 v33, v35, v36
	;; [unrolled: 1-line block ×6, first 2 shown]
	v_fma_f32 v30, v30, 2.0, -v42
	v_fma_f32 v31, v31, 2.0, -v43
	v_fma_f32 v34, v34, 2.0, -v32
	v_fma_f32 v35, v35, 2.0, -v33
	v_fma_f32 v40, v48, 2.0, -v36
	v_fma_f32 v41, v49, 2.0, -v37
	v_fma_f32 v42, v50, 2.0, -v38
	v_fma_f32 v43, v51, 2.0, -v39
	ds_write2_b64 v121, v[28:29], v[30:31] offset0:204 offset1:255
	ds_write2_b64 v87, v[26:27], v[24:25] offset0:152 offset1:254
	;; [unrolled: 1-line block ×5, first 2 shown]
	s_waitcnt lgkmcnt(0)
	s_barrier
	buffer_gl0_inv
	s_clause 0x3
	global_load_dwordx2 v[93:94], v116, s[2:3] offset:1496
	global_load_dwordx2 v[91:92], v116, s[2:3] offset:1904
	global_load_dwordx2 v[87:88], v[95:96], off offset:264
	global_load_dwordx2 v[89:90], v[95:96], off offset:672
	ds_read2_b64 v[24:27], v113 offset0:152 offset1:203
	ds_read2_b64 v[28:31], v140 offset0:126 offset1:177
	;; [unrolled: 1-line block ×4, first 2 shown]
	ds_read2_b64 v[40:43], v121 offset1:51
	ds_read2_b64 v[44:47], v121 offset0:102 offset1:153
	ds_read2_b64 v[48:51], v121 offset0:204 offset1:255
	;; [unrolled: 1-line block ×3, first 2 shown]
	s_waitcnt vmcnt(0) lgkmcnt(0)
	s_barrier
	buffer_gl0_inv
	v_mul_f32_e32 v99, v25, v94
	v_mul_f32_e32 v100, v24, v94
	;; [unrolled: 1-line block ×16, first 2 shown]
	v_fma_f32 v24, v24, v93, -v99
	v_fmac_f32_e32 v100, v25, v93
	v_fma_f32 v26, v26, v91, -v101
	v_fmac_f32_e32 v102, v27, v91
	;; [unrolled: 2-line block ×8, first 2 shown]
	v_sub_f32_e32 v24, v40, v24
	v_sub_f32_e32 v25, v41, v100
	;; [unrolled: 1-line block ×16, first 2 shown]
	v_fma_f32 v40, v40, 2.0, -v24
	v_fma_f32 v41, v41, 2.0, -v25
	;; [unrolled: 1-line block ×16, first 2 shown]
	ds_write2_b64 v121, v[24:25], v[26:27] offset0:204 offset1:255
	ds_write2_b64 v113, v[28:29], v[30:31] offset0:50 offset1:101
	;; [unrolled: 1-line block ×4, first 2 shown]
	ds_write2_b64 v121, v[40:41], v[42:43] offset1:51
	ds_write2_b64 v121, v[44:45], v[46:47] offset0:102 offset1:153
	ds_write2_b64 v113, v[48:49], v[50:51] offset0:152 offset1:203
	;; [unrolled: 1-line block ×3, first 2 shown]
	v_add_co_u32 v24, s1, 0x1000, v97
	v_add_co_ci_u32_e64 v25, s1, 0, v98, s1
	s_waitcnt lgkmcnt(0)
	s_barrier
	buffer_gl0_inv
	s_clause 0x7
	global_load_dwordx2 v[103:104], v[95:96], off offset:1080
	global_load_dwordx2 v[109:110], v[95:96], off offset:1488
	global_load_dwordx2 v[107:108], v[95:96], off offset:1896
	global_load_dwordx2 v[97:98], v[24:25], off offset:256
	global_load_dwordx2 v[99:100], v[24:25], off offset:664
	global_load_dwordx2 v[105:106], v[24:25], off offset:1072
	global_load_dwordx2 v[95:96], v[24:25], off offset:1480
	global_load_dwordx2 v[101:102], v[24:25], off offset:1888
	ds_read2_b64 v[24:27], v113 offset0:152 offset1:203
	ds_read2_b64 v[28:31], v140 offset0:126 offset1:177
	;; [unrolled: 1-line block ×4, first 2 shown]
	ds_read2_b64 v[141:144], v121 offset1:51
	ds_read2_b64 v[145:148], v121 offset0:102 offset1:153
	ds_read2_b64 v[149:152], v121 offset0:204 offset1:255
	;; [unrolled: 1-line block ×3, first 2 shown]
	s_waitcnt vmcnt(6) lgkmcnt(7)
	v_mul_f32_e32 v42, v27, v110
	v_mul_f32_e32 v43, v26, v110
	s_waitcnt vmcnt(5) lgkmcnt(6)
	v_mul_f32_e32 v44, v29, v108
	v_mul_f32_e32 v45, v28, v108
	s_waitcnt vmcnt(4)
	v_mul_f32_e32 v46, v31, v98
	v_mul_f32_e32 v40, v25, v104
	;; [unrolled: 1-line block ×4, first 2 shown]
	s_waitcnt vmcnt(3) lgkmcnt(5)
	v_mul_f32_e32 v48, v33, v100
	v_mul_f32_e32 v49, v32, v100
	s_waitcnt vmcnt(2)
	v_mul_f32_e32 v50, v35, v106
	v_mul_f32_e32 v52, v34, v106
	s_waitcnt vmcnt(1) lgkmcnt(4)
	v_mul_f32_e32 v51, v37, v96
	v_mul_f32_e32 v53, v36, v96
	s_waitcnt vmcnt(0)
	v_mul_f32_e32 v54, v39, v102
	v_mul_f32_e32 v157, v38, v102
	v_fma_f32 v24, v24, v103, -v40
	v_fmac_f32_e32 v41, v25, v103
	v_fma_f32 v25, v26, v109, -v42
	v_fmac_f32_e32 v43, v27, v109
	;; [unrolled: 2-line block ×8, first 2 shown]
	s_waitcnt lgkmcnt(3)
	v_sub_f32_e32 v26, v141, v24
	v_sub_f32_e32 v27, v142, v41
	v_sub_f32_e32 v42, v143, v25
	v_sub_f32_e32 v43, v144, v43
	s_waitcnt lgkmcnt(2)
	v_sub_f32_e32 v54, v145, v28
	v_sub_f32_e32 v55, v146, v45
	v_sub_f32_e32 v50, v147, v29
	v_sub_f32_e32 v51, v148, v47
	s_waitcnt lgkmcnt(1)
	v_sub_f32_e32 v46, v149, v30
	v_sub_f32_e32 v47, v150, v49
	v_sub_f32_e32 v38, v151, v31
	v_sub_f32_e32 v39, v152, v52
	s_waitcnt lgkmcnt(0)
	v_sub_f32_e32 v34, v153, v32
	v_sub_f32_e32 v35, v154, v53
	v_sub_f32_e32 v30, v155, v33
	v_sub_f32_e32 v31, v156, v157
	v_fma_f32 v24, v141, 2.0, -v26
	v_fma_f32 v25, v142, 2.0, -v27
	;; [unrolled: 1-line block ×16, first 2 shown]
	ds_write2_b64 v113, v[26:27], v[42:43] offset0:152 offset1:203
	ds_write2_b64 v140, v[54:55], v[50:51] offset0:126 offset1:177
	;; [unrolled: 1-line block ×4, first 2 shown]
	ds_write2_b64 v121, v[24:25], v[40:41] offset1:51
	ds_write2_b64 v121, v[52:53], v[48:49] offset0:102 offset1:153
	ds_write2_b64 v121, v[44:45], v[36:37] offset0:204 offset1:255
	;; [unrolled: 1-line block ×3, first 2 shown]
	s_waitcnt lgkmcnt(0)
	s_barrier
	buffer_gl0_inv
	s_and_saveexec_b32 s8, vcc_lo
	s_cbranch_execz .LBB0_13
; %bb.12:
	s_add_u32 s2, s12, 0x1980
	s_addc_u32 s3, s13, 0
	v_add_co_u32 v143, s1, s2, v116
	global_load_dwordx2 v[113:114], v116, s[2:3]
	v_add_co_ci_u32_e64 v144, null, s3, 0, s1
	v_add_co_u32 v140, s1, 0x800, v143
	v_or_b32_e32 v142, 0xc00, v116
	v_add_co_ci_u32_e64 v141, s1, 0, v144, s1
	s_clause 0x7
	global_load_dwordx2 v[172:173], v116, s[2:3] offset:384
	global_load_dwordx2 v[174:175], v116, s[2:3] offset:768
	;; [unrolled: 1-line block ×5, first 2 shown]
	global_load_dwordx2 v[182:183], v142, s[2:3]
	global_load_dwordx2 v[184:185], v[140:141], off offset:256
	global_load_dwordx2 v[186:187], v[140:141], off offset:640
	v_add_co_u32 v142, s1, 0x1000, v143
	v_add_co_ci_u32_e64 v143, s1, 0, v144, s1
	v_or_b32_e32 v144, 0x1200, v116
	s_clause 0x2
	global_load_dwordx2 v[188:189], v[140:141], off offset:1408
	global_load_dwordx2 v[190:191], v[140:141], off offset:1792
	;; [unrolled: 1-line block ×3, first 2 shown]
	v_or_b32_e32 v140, 0x1800, v116
	s_clause 0x4
	global_load_dwordx2 v[194:195], v144, s[2:3]
	global_load_dwordx2 v[196:197], v[142:143], off offset:896
	global_load_dwordx2 v[198:199], v[142:143], off offset:1280
	global_load_dwordx2 v[200:201], v140, s[2:3]
	global_load_dwordx2 v[202:203], v[142:143], off offset:1664
	ds_read_b64 v[140:141], v121
	v_add_nc_u32_e32 v204, 0x400, v116
	v_add_nc_u32_e32 v205, 0x800, v116
	;; [unrolled: 1-line block ×4, first 2 shown]
	s_waitcnt vmcnt(16) lgkmcnt(0)
	v_mul_f32_e32 v142, v141, v114
	v_mul_f32_e32 v143, v140, v114
	v_fma_f32 v142, v140, v113, -v142
	v_fmac_f32_e32 v143, v141, v113
	ds_write_b64 v121, v[142:143]
	ds_read2_b64 v[140:143], v116 offset0:48 offset1:96
	ds_read2_b64 v[144:147], v116 offset0:144 offset1:192
	;; [unrolled: 1-line block ×8, first 2 shown]
	s_waitcnt vmcnt(15) lgkmcnt(7)
	v_mul_f32_e32 v113, v141, v173
	v_mul_f32_e32 v114, v140, v173
	s_waitcnt vmcnt(14)
	v_mul_f32_e32 v208, v143, v175
	v_mul_f32_e32 v173, v142, v175
	s_waitcnt vmcnt(13) lgkmcnt(6)
	v_mul_f32_e32 v209, v145, v177
	v_mul_f32_e32 v175, v144, v177
	s_waitcnt vmcnt(12)
	v_mul_f32_e32 v210, v147, v179
	v_mul_f32_e32 v177, v146, v179
	;; [unrolled: 6-line block ×3, first 2 shown]
	s_waitcnt vmcnt(8) lgkmcnt(4)
	v_mul_f32_e32 v213, v153, v187
	v_mul_f32_e32 v185, v152, v187
	;; [unrolled: 1-line block ×4, first 2 shown]
	s_waitcnt vmcnt(7) lgkmcnt(3)
	v_mul_f32_e32 v215, v157, v189
	v_mul_f32_e32 v183, v156, v189
	s_waitcnt vmcnt(6)
	v_mul_f32_e32 v216, v159, v191
	v_mul_f32_e32 v189, v158, v191
	s_waitcnt vmcnt(5) lgkmcnt(2)
	v_mul_f32_e32 v217, v161, v193
	v_mul_f32_e32 v191, v160, v193
	s_waitcnt vmcnt(4)
	v_mul_f32_e32 v218, v163, v195
	v_mul_f32_e32 v193, v162, v195
	;; [unrolled: 6-line block ×3, first 2 shown]
	s_waitcnt vmcnt(0) lgkmcnt(0)
	v_mul_f32_e32 v221, v169, v203
	v_mul_f32_e32 v199, v168, v203
	;; [unrolled: 1-line block ×4, first 2 shown]
	v_fma_f32 v113, v140, v172, -v113
	v_fmac_f32_e32 v114, v141, v172
	v_fma_f32 v172, v142, v174, -v208
	v_fmac_f32_e32 v173, v143, v174
	;; [unrolled: 2-line block ×16, first 2 shown]
	ds_write2_b64 v116, v[113:114], v[172:173] offset0:48 offset1:96
	ds_write2_b64 v116, v[174:175], v[176:177] offset0:144 offset1:192
	;; [unrolled: 1-line block ×8, first 2 shown]
.LBB0_13:
	s_or_b32 exec_lo, exec_lo, s8
	s_waitcnt lgkmcnt(0)
	s_barrier
	buffer_gl0_inv
	s_and_saveexec_b32 s1, vcc_lo
	s_cbranch_execz .LBB0_15
; %bb.14:
	v_add_nc_u32_e32 v28, 0x800, v121
	v_add_nc_u32_e32 v29, 0xc00, v121
	;; [unrolled: 1-line block ×3, first 2 shown]
	ds_read2_b64 v[24:27], v121 offset1:48
	ds_read2_b64 v[40:43], v121 offset0:96 offset1:144
	ds_read2_b64 v[52:55], v121 offset0:192 offset1:240
	;; [unrolled: 1-line block ×7, first 2 shown]
	ds_read_b64 v[111:112], v121 offset:6144
.LBB0_15:
	s_or_b32 exec_lo, exec_lo, s1
	s_waitcnt lgkmcnt(0)
	v_sub_f32_e32 v183, v27, v112
	v_add_f32_e32 v185, v112, v27
	v_add_f32_e32 v182, v111, v26
	v_sub_f32_e32 v161, v41, v31
	v_sub_f32_e32 v184, v26, v111
	v_mul_f32_e32 v186, 0xbeb8f4ab, v183
	v_mul_f32_e32 v187, 0x3f6eb680, v185
	v_add_f32_e32 v140, v30, v40
	v_add_f32_e32 v163, v31, v41
	v_mul_f32_e32 v154, 0xbf2c7751, v161
	v_fma_f32 v113, 0x3f6eb680, v182, -v186
	v_fmamk_f32 v114, v184, 0xbeb8f4ab, v187
	v_sub_f32_e32 v141, v40, v30
	v_mul_f32_e32 v155, 0x3f3d2fb0, v163
	v_sub_f32_e32 v164, v43, v29
	v_add_f32_e32 v113, v24, v113
	v_fma_f32 v143, 0x3f3d2fb0, v140, -v154
	v_add_f32_e32 v169, v29, v43
	v_add_f32_e32 v114, v25, v114
	v_fmamk_f32 v144, v141, 0xbf2c7751, v155
	v_add_f32_e32 v142, v28, v42
	v_mul_f32_e32 v156, 0xbf65296c, v164
	v_add_f32_e32 v113, v143, v113
	v_sub_f32_e32 v143, v42, v28
	v_mul_f32_e32 v158, 0x3ee437d1, v169
	v_sub_f32_e32 v167, v53, v35
	v_add_f32_e32 v114, v144, v114
	v_fma_f32 v146, 0x3ee437d1, v142, -v156
	v_add_f32_e32 v174, v35, v53
	v_fmamk_f32 v147, v143, 0xbf65296c, v158
	v_add_f32_e32 v144, v34, v52
	v_mul_f32_e32 v157, 0xbf7ee86f, v167
	v_sub_f32_e32 v145, v52, v34
	v_mul_f32_e32 v160, 0x3dbcf732, v174
	v_add_f32_e32 v113, v146, v113
	v_add_f32_e32 v114, v147, v114
	v_sub_f32_e32 v171, v55, v33
	v_fma_f32 v147, 0x3dbcf732, v144, -v157
	v_add_f32_e32 v176, v33, v55
	v_fmamk_f32 v148, v145, 0xbf7ee86f, v160
	v_add_f32_e32 v146, v32, v54
	v_mul_f32_e32 v159, 0xbf763a35, v171
	v_add_f32_e32 v113, v147, v113
	v_sub_f32_e32 v147, v54, v32
	v_mul_f32_e32 v165, 0xbe8c1d8e, v176
	v_sub_f32_e32 v175, v49, v39
	v_add_f32_e32 v114, v148, v114
	v_fma_f32 v150, 0xbe8c1d8e, v146, -v159
	v_add_f32_e32 v177, v39, v49
	v_fmamk_f32 v151, v147, 0xbf763a35, v165
	v_add_f32_e32 v148, v38, v48
	v_mul_f32_e32 v162, 0xbf4c4adb, v175
	v_sub_f32_e32 v149, v48, v38
	v_mul_f32_e32 v168, 0xbf1a4643, v177
	v_add_f32_e32 v113, v150, v113
	v_add_f32_e32 v114, v151, v114
	v_sub_f32_e32 v178, v51, v37
	v_fma_f32 v151, 0xbf1a4643, v148, -v162
	v_add_f32_e32 v179, v37, v51
	v_fmamk_f32 v152, v149, 0xbf4c4adb, v168
	v_add_f32_e32 v150, v36, v50
	v_mul_f32_e32 v166, 0xbf06c442, v178
	v_add_f32_e32 v113, v151, v113
	v_sub_f32_e32 v151, v50, v36
	v_mul_f32_e32 v170, 0xbf59a7d5, v179
	v_sub_f32_e32 v180, v45, v47
	v_add_f32_e32 v181, v47, v45
	v_add_f32_e32 v114, v152, v114
	v_fma_f32 v188, 0xbf59a7d5, v150, -v166
	v_fmamk_f32 v189, v151, 0xbf06c442, v170
	v_add_f32_e32 v152, v46, v44
	v_sub_f32_e32 v153, v44, v46
	v_mul_f32_e32 v172, 0xbe3c28d5, v180
	v_mul_f32_e32 v173, 0xbf7ba420, v181
	v_add_f32_e32 v113, v188, v113
	v_add_f32_e32 v114, v189, v114
	v_fma_f32 v188, 0xbf7ba420, v152, -v172
	v_fmamk_f32 v189, v153, 0xbe3c28d5, v173
	s_barrier
	buffer_gl0_inv
	v_add_f32_e32 v113, v188, v113
	v_add_f32_e32 v114, v189, v114
	s_and_saveexec_b32 s1, vcc_lo
	s_cbranch_execz .LBB0_17
; %bb.16:
	v_add_f32_e32 v27, v27, v25
	v_add_f32_e32 v26, v26, v24
	v_mul_f32_e32 v198, 0x3f763a35, v167
	v_mul_f32_e32 v199, 0x3f2c7751, v171
	v_mul_f32_e32 v200, 0xbeb8f4ab, v175
	v_add_f32_e32 v27, v41, v27
	v_add_f32_e32 v26, v40, v26
	v_mul_f32_e32 v201, 0xbf7ee86f, v178
	v_mul_f32_e32 v202, 0xbf06c442, v153
	v_mul_f32_e32 v203, 0xbf06c442, v180
	;; [unrolled: 5-line block ×6, first 2 shown]
	v_add_f32_e32 v27, v51, v27
	v_add_f32_e32 v26, v50, v26
	v_mul_f32_e32 v50, 0xbf2c7751, v183
	v_fmamk_f32 v55, v182, 0xbf1a4643, v48
	v_fma_f32 v48, 0xbf1a4643, v182, -v48
	v_add_f32_e32 v27, v45, v27
	v_add_f32_e32 v26, v44, v26
	v_mul_f32_e32 v44, 0xbf65296c, v183
	v_mul_f32_e32 v45, 0xbf763a35, v183
	v_add_f32_e32 v55, v24, v55
	v_add_f32_e32 v27, v47, v27
	;; [unrolled: 1-line block ×3, first 2 shown]
	v_mul_f32_e32 v46, 0xbf06c442, v183
	v_mul_f32_e32 v47, 0xbe3c28d5, v183
	v_fma_f32 v52, 0xbe8c1d8e, v182, -v45
	v_add_f32_e32 v27, v37, v27
	v_add_f32_e32 v26, v36, v26
	v_mul_f32_e32 v36, 0xbf7ba420, v185
	v_mul_f32_e32 v37, 0xbf1a4643, v185
	v_fma_f32 v51, 0xbf59a7d5, v182, -v46
	v_add_f32_e32 v27, v39, v27
	v_add_f32_e32 v26, v38, v26
	v_mul_f32_e32 v39, 0x3f3d2fb0, v185
	v_mul_f32_e32 v38, 0x3dbcf732, v185
	v_fmamk_f32 v40, v184, 0x3e3c28d5, v36
	v_add_f32_e32 v27, v33, v27
	v_add_f32_e32 v26, v32, v26
	v_fmamk_f32 v43, v184, 0x3f2c7751, v39
	v_mul_f32_e32 v32, 0xbf763a35, v184
	v_fmac_f32_e32 v36, 0xbe3c28d5, v184
	v_add_f32_e32 v27, v35, v27
	v_add_f32_e32 v26, v34, v26
	v_mul_f32_e32 v34, 0xbf65296c, v184
	v_fmamk_f32 v41, v184, 0x3f4c4adb, v37
	v_fmac_f32_e32 v37, 0xbf4c4adb, v184
	v_add_f32_e32 v27, v29, v27
	v_add_f32_e32 v26, v28, v26
	v_mul_f32_e32 v28, 0xbeb8f4ab, v184
	v_mul_f32_e32 v29, 0x3f6eb680, v182
	v_fmamk_f32 v35, v185, 0x3ee437d1, v34
	v_fmamk_f32 v42, v184, 0x3f7ee86f, v38
	v_add_f32_e32 v26, v30, v26
	v_sub_f32_e32 v28, v187, v28
	v_add_f32_e32 v29, v29, v186
	v_mul_f32_e32 v30, 0xbf06c442, v184
	v_fmac_f32_e32 v38, 0xbf7ee86f, v184
	v_fmac_f32_e32 v39, 0xbf2c7751, v184
	v_fmac_f32_e32 v46, 0xbf59a7d5, v182
	v_fmac_f32_e32 v45, 0xbe8c1d8e, v182
	v_fma_f32 v53, 0x3ee437d1, v182, -v44
	v_fmac_f32_e32 v44, 0x3ee437d1, v182
	v_fmamk_f32 v54, v182, 0xbf7ba420, v47
	v_fma_f32 v47, 0xbf7ba420, v182, -v47
	v_fmamk_f32 v183, v182, 0x3dbcf732, v49
	v_fma_f32 v49, 0x3dbcf732, v182, -v49
	;; [unrolled: 2-line block ×3, first 2 shown]
	v_add_f32_e32 v187, v25, v43
	v_mul_f32_e32 v43, 0xbf4c4adb, v141
	v_add_f32_e32 v27, v31, v27
	v_fmamk_f32 v31, v185, 0xbf59a7d5, v30
	v_fma_f32 v30, 0xbf59a7d5, v185, -v30
	v_fmamk_f32 v33, v185, 0xbe8c1d8e, v32
	v_fma_f32 v32, 0xbe8c1d8e, v185, -v32
	v_fma_f32 v34, 0x3ee437d1, v185, -v34
	v_add_f32_e32 v35, v25, v35
	v_add_f32_e32 v53, v24, v53
	;; [unrolled: 1-line block ×16, first 2 shown]
	v_fmamk_f32 v26, v163, 0xbf1a4643, v43
	v_mul_f32_e32 v47, 0x3e3c28d5, v143
	v_add_f32_e32 v33, v25, v33
	v_add_f32_e32 v31, v25, v31
	;; [unrolled: 1-line block ×15, first 2 shown]
	v_fmamk_f32 v27, v169, 0xbf7ba420, v47
	v_mul_f32_e32 v48, 0x3f763a35, v145
	v_mul_f32_e32 v49, 0x3f2c7751, v147
	;; [unrolled: 1-line block ×4, first 2 shown]
	v_add_f32_e32 v26, v27, v26
	v_fmamk_f32 v27, v174, 0xbe8c1d8e, v48
	v_mul_f32_e32 v112, 0x3e3c28d5, v164
	v_mul_f32_e32 v38, 0x3f06c442, v141
	;; [unrolled: 1-line block ×4, first 2 shown]
	v_add_f32_e32 v26, v27, v26
	v_fmamk_f32 v27, v176, 0x3f3d2fb0, v49
	v_mul_f32_e32 v34, 0x3f65296c, v141
	v_fmamk_f32 v29, v169, 0x3f3d2fb0, v39
	v_mul_f32_e32 v35, 0xbf7ee86f, v143
	v_mul_f32_e32 v36, 0x3f4c4adb, v145
	v_add_f32_e32 v26, v27, v26
	v_fmamk_f32 v27, v177, 0x3f6eb680, v50
	v_mul_f32_e32 v37, 0xbeb8f4ab, v147
	v_mul_f32_e32 v215, 0xbe3c28d5, v149
	;; [unrolled: 1-line block ×4, first 2 shown]
	v_add_f32_e32 v26, v27, v26
	v_fma_f32 v27, 0xbf1a4643, v140, -v111
	v_mul_f32_e32 v218, 0x3f4c4adb, v167
	v_mul_f32_e32 v219, 0xbeb8f4ab, v171
	;; [unrolled: 1-line block ×4, first 2 shown]
	v_add_f32_e32 v27, v27, v53
	v_mul_f32_e32 v53, 0xbf7ee86f, v151
	v_mul_f32_e32 v222, 0xbf763a35, v153
	;; [unrolled: 1-line block ×5, first 2 shown]
	v_fmamk_f32 v28, v179, 0x3dbcf732, v53
	v_mul_f32_e32 v226, 0x3f3d2fb0, v174
	v_mul_f32_e32 v227, 0xbf1a4643, v176
	v_mul_f32_e32 v228, 0x3ee437d1, v177
	v_mul_f32_e32 v229, 0x3eb8f4ab, v161
	v_add_f32_e32 v26, v28, v26
	v_fma_f32 v28, 0xbf7ba420, v142, -v112
	v_mul_f32_e32 v230, 0xbf06c442, v164
	v_mul_f32_e32 v231, 0x3f2c7751, v167
	;; [unrolled: 1-line block ×4, first 2 shown]
	v_add_f32_e32 v27, v28, v27
	v_fma_f32 v28, 0xbe8c1d8e, v144, -v198
	v_mul_f32_e32 v234, 0xbf763a35, v178
	v_mul_f32_e32 v235, 0x3dbcf732, v181
	;; [unrolled: 1-line block ×3, first 2 shown]
	v_fma_f32 v39, 0x3f3d2fb0, v169, -v39
	v_add_f32_e32 v27, v28, v27
	v_fma_f32 v28, 0x3f3d2fb0, v146, -v199
	v_mul_f32_e32 v237, 0x3ee437d1, v181
	v_mul_f32_e32 v238, 0x3f65296c, v180
	v_fmac_f32_e32 v111, 0xbf1a4643, v140
	v_fmac_f32_e32 v112, 0xbf7ba420, v142
	v_add_f32_e32 v27, v28, v27
	v_fma_f32 v28, 0x3f6eb680, v148, -v200
	v_fmac_f32_e32 v198, 0xbe8c1d8e, v144
	v_fmac_f32_e32 v199, 0x3f3d2fb0, v146
	;; [unrolled: 1-line block ×3, first 2 shown]
	v_add_f32_e32 v27, v28, v27
	v_fma_f32 v28, 0x3dbcf732, v150, -v201
	v_fmac_f32_e32 v201, 0x3dbcf732, v150
	v_add_f32_e32 v28, v28, v27
	v_fmamk_f32 v27, v181, 0xbf59a7d5, v202
	v_add_f32_e32 v27, v27, v26
	v_fma_f32 v26, 0xbf59a7d5, v152, -v203
	v_fmac_f32_e32 v203, 0xbf59a7d5, v152
	v_add_f32_e32 v26, v26, v28
	v_fmamk_f32 v28, v163, 0xbf59a7d5, v38
	v_fma_f32 v38, 0xbf59a7d5, v163, -v38
	v_add_f32_e32 v28, v28, v33
	v_fmamk_f32 v33, v143, 0x3f06c442, v225
	v_add_f32_e32 v38, v38, v185
	v_mul_f32_e32 v185, 0xbe8c1d8e, v169
	v_fmac_f32_e32 v225, 0xbf06c442, v143
	v_add_f32_e32 v28, v29, v28
	v_fmamk_f32 v29, v174, 0x3ee437d1, v204
	v_add_f32_e32 v38, v39, v38
	v_fma_f32 v39, 0x3ee437d1, v174, -v204
	v_mul_f32_e32 v204, 0x3f6eb680, v174
	v_add_f32_e32 v28, v29, v28
	v_fmamk_f32 v29, v176, 0xbf7ba420, v205
	v_add_f32_e32 v38, v39, v38
	v_fma_f32 v39, 0xbf7ba420, v176, -v205
	v_mul_f32_e32 v205, 0x3ee437d1, v176
	v_add_f32_e32 v28, v29, v28
	v_fmamk_f32 v29, v177, 0x3dbcf732, v206
	v_add_f32_e32 v38, v39, v38
	v_add_f32_e32 v28, v29, v28
	v_fma_f32 v29, 0xbf59a7d5, v140, -v207
	v_fmac_f32_e32 v207, 0xbf59a7d5, v140
	v_add_f32_e32 v29, v29, v52
	v_mul_f32_e32 v52, 0xbeb8f4ab, v151
	v_add_f32_e32 v39, v207, v45
	v_mul_f32_e32 v207, 0xbe3c28d5, v161
	v_fmamk_f32 v30, v179, 0x3f6eb680, v52
	v_add_f32_e32 v28, v30, v28
	v_fma_f32 v30, 0x3f3d2fb0, v142, -v208
	v_fmac_f32_e32 v208, 0x3f3d2fb0, v142
	v_add_f32_e32 v29, v30, v29
	v_fma_f32 v30, 0x3ee437d1, v144, -v209
	v_add_f32_e32 v39, v208, v39
	v_fmac_f32_e32 v209, 0x3ee437d1, v144
	v_mul_f32_e32 v208, 0x3f763a35, v164
	v_add_f32_e32 v29, v30, v29
	v_fma_f32 v30, 0xbf7ba420, v146, -v210
	v_add_f32_e32 v39, v209, v39
	v_fmac_f32_e32 v210, 0xbf7ba420, v146
	v_mul_f32_e32 v209, 0x3eb8f4ab, v167
	;; [unrolled: 5-line block ×4, first 2 shown]
	v_add_f32_e32 v30, v30, v29
	v_fmamk_f32 v29, v181, 0xbf1a4643, v213
	v_add_f32_e32 v29, v29, v28
	v_fma_f32 v28, 0xbf1a4643, v152, -v214
	v_fmac_f32_e32 v214, 0xbf1a4643, v152
	v_add_f32_e32 v28, v28, v30
	v_fmamk_f32 v30, v163, 0x3ee437d1, v34
	v_fma_f32 v34, 0x3ee437d1, v163, -v34
	v_add_f32_e32 v30, v30, v31
	v_fmamk_f32 v31, v169, 0x3dbcf732, v35
	v_add_f32_e32 v34, v34, v182
	v_fma_f32 v35, 0x3dbcf732, v169, -v35
	v_mul_f32_e32 v182, 0x3f6eb680, v169
	v_add_f32_e32 v30, v31, v30
	v_fmamk_f32 v31, v174, 0xbf1a4643, v36
	v_add_f32_e32 v34, v35, v34
	v_fma_f32 v35, 0xbf1a4643, v174, -v36
	v_fma_f32 v36, 0xbf7ba420, v177, -v215
	v_add_f32_e32 v30, v31, v30
	v_fmamk_f32 v31, v176, 0x3f6eb680, v37
	v_add_f32_e32 v34, v35, v34
	v_fma_f32 v35, 0x3f6eb680, v176, -v37
	v_fmamk_f32 v37, v143, 0x3eb8f4ab, v182
	v_fmac_f32_e32 v182, 0xbeb8f4ab, v143
	v_add_f32_e32 v30, v31, v30
	v_fmamk_f32 v31, v177, 0xbf7ba420, v215
	v_add_f32_e32 v34, v35, v34
	v_mul_f32_e32 v215, 0xbf59a7d5, v174
	v_add_f32_e32 v30, v31, v30
	v_fma_f32 v31, 0x3ee437d1, v140, -v216
	v_fmac_f32_e32 v216, 0x3ee437d1, v140
	v_add_f32_e32 v34, v36, v34
	v_add_f32_e32 v31, v31, v51
	v_mul_f32_e32 v51, 0x3f2c7751, v151
	v_add_f32_e32 v35, v216, v46
	v_mul_f32_e32 v216, 0x3dbcf732, v176
	v_fmamk_f32 v32, v179, 0x3f3d2fb0, v51
	v_fma_f32 v36, 0x3f3d2fb0, v179, -v51
	v_mul_f32_e32 v51, 0xbe8c1d8e, v163
	v_add_f32_e32 v30, v32, v30
	v_fma_f32 v32, 0x3dbcf732, v142, -v217
	v_fmac_f32_e32 v217, 0x3dbcf732, v142
	v_add_f32_e32 v34, v36, v34
	v_add_f32_e32 v31, v32, v31
	v_fma_f32 v32, 0xbf1a4643, v144, -v218
	v_add_f32_e32 v35, v217, v35
	v_fmac_f32_e32 v218, 0xbf1a4643, v144
	v_mul_f32_e32 v217, 0x3f3d2fb0, v177
	v_add_f32_e32 v31, v32, v31
	v_fma_f32 v32, 0x3f6eb680, v146, -v219
	v_add_f32_e32 v35, v218, v35
	v_fmac_f32_e32 v219, 0x3f6eb680, v146
	v_mul_f32_e32 v218, 0x3f763a35, v161
	v_mul_f32_e32 v161, 0xbf7ee86f, v161
	v_add_f32_e32 v31, v32, v31
	v_fma_f32 v32, 0xbf7ba420, v148, -v220
	v_add_f32_e32 v35, v219, v35
	v_fmac_f32_e32 v220, 0xbf7ba420, v148
	v_mul_f32_e32 v219, 0xbeb8f4ab, v164
	;; [unrolled: 6-line block ×3, first 2 shown]
	v_mul_f32_e32 v167, 0xbe3c28d5, v167
	v_add_f32_e32 v32, v32, v31
	v_fmamk_f32 v31, v181, 0xbe8c1d8e, v222
	v_add_f32_e32 v36, v221, v35
	v_fma_f32 v35, 0xbe8c1d8e, v181, -v222
	v_mul_f32_e32 v221, 0x3f7ee86f, v171
	v_mul_f32_e32 v222, 0xbf2c7751, v175
	v_add_f32_e32 v31, v31, v30
	v_fma_f32 v30, 0xbe8c1d8e, v152, -v223
	v_fmac_f32_e32 v223, 0xbe8c1d8e, v152
	v_add_f32_e32 v35, v35, v34
	v_mul_f32_e32 v171, 0x3f06c442, v171
	v_mul_f32_e32 v175, 0x3f763a35, v175
	v_add_f32_e32 v30, v30, v32
	v_fmamk_f32 v32, v141, 0xbeb8f4ab, v224
	v_add_f32_e32 v34, v223, v36
	v_fmamk_f32 v36, v141, 0xbf763a35, v51
	v_mul_f32_e32 v223, 0xbe3c28d5, v178
	v_fmac_f32_e32 v224, 0x3eb8f4ab, v141
	v_add_f32_e32 v32, v32, v40
	v_fmac_f32_e32 v51, 0x3f763a35, v141
	v_add_f32_e32 v36, v36, v41
	v_fmamk_f32 v41, v143, 0xbf763a35, v185
	v_fmac_f32_e32 v185, 0x3f763a35, v143
	v_add_f32_e32 v32, v33, v32
	v_fmamk_f32 v33, v145, 0xbf2c7751, v226
	v_add_f32_e32 v36, v37, v36
	v_fmamk_f32 v37, v145, 0x3f06c442, v215
	v_fmac_f32_e32 v226, 0x3f2c7751, v145
	v_fmac_f32_e32 v215, 0xbf06c442, v145
	v_add_f32_e32 v32, v33, v32
	v_fmamk_f32 v33, v147, 0x3f4c4adb, v227
	v_add_f32_e32 v36, v37, v36
	v_fmamk_f32 v37, v147, 0xbf7ee86f, v216
	v_fmac_f32_e32 v227, 0xbf4c4adb, v147
	;; [unrolled: 6-line block ×3, first 2 shown]
	v_fmac_f32_e32 v217, 0xbf2c7751, v149
	v_add_f32_e32 v32, v33, v32
	v_fmamk_f32 v33, v140, 0x3f6eb680, v229
	v_add_f32_e32 v36, v37, v36
	v_fmamk_f32 v37, v140, 0xbe8c1d8e, v218
	v_add_f32_e32 v33, v33, v54
	v_mul_f32_e32 v54, 0xbe8c1d8e, v179
	v_add_f32_e32 v37, v37, v55
	v_mul_f32_e32 v55, 0xbf7ba420, v179
	v_fmamk_f32 v40, v151, 0x3f763a35, v54
	v_fmac_f32_e32 v54, 0xbf763a35, v151
	v_add_f32_e32 v32, v40, v32
	v_fmamk_f32 v40, v142, 0xbf59a7d5, v230
	v_add_f32_e32 v33, v40, v33
	v_fmamk_f32 v40, v144, 0x3f3d2fb0, v231
	;; [unrolled: 2-line block ×6, first 2 shown]
	v_fmac_f32_e32 v235, 0x3f7ee86f, v153
	v_add_f32_e32 v33, v33, v32
	v_fmamk_f32 v32, v152, 0x3dbcf732, v236
	v_add_f32_e32 v32, v32, v40
	v_fmamk_f32 v40, v151, 0x3e3c28d5, v55
	v_fmac_f32_e32 v55, 0xbe3c28d5, v151
	v_add_f32_e32 v36, v40, v36
	v_fmamk_f32 v40, v142, 0x3f6eb680, v219
	v_add_f32_e32 v37, v40, v37
	v_fmamk_f32 v40, v144, 0xbf59a7d5, v220
	;; [unrolled: 2-line block ×6, first 2 shown]
	v_fmac_f32_e32 v237, 0x3f65296c, v153
	v_add_f32_e32 v37, v37, v36
	v_fmamk_f32 v36, v152, 0x3ee437d1, v238
	v_add_f32_e32 v36, v36, v40
	v_fma_f32 v40, 0x3dbcf732, v177, -v206
	v_mul_f32_e32 v206, 0xbf59a7d5, v177
	v_add_f32_e32 v38, v40, v38
	v_fma_f32 v40, 0x3f6eb680, v179, -v52
	v_mul_f32_e32 v52, 0xbf7ba420, v163
	v_add_f32_e32 v38, v40, v38
	v_add_f32_e32 v40, v212, v39
	v_fma_f32 v39, 0xbf1a4643, v181, -v213
	v_mul_f32_e32 v212, 0x3f4c4adb, v178
	v_mul_f32_e32 v213, 0x3f3d2fb0, v181
	v_add_f32_e32 v39, v39, v38
	v_add_f32_e32 v38, v214, v40
	v_fmamk_f32 v40, v141, 0x3e3c28d5, v52
	v_mul_f32_e32 v214, 0x3f2c7751, v180
	v_fmac_f32_e32 v52, 0xbe3c28d5, v141
	v_add_f32_e32 v40, v40, v42
	v_add_f32_e32 v52, v52, v194
	;; [unrolled: 1-line block ×3, first 2 shown]
	v_fmamk_f32 v41, v145, 0xbeb8f4ab, v204
	v_add_f32_e32 v52, v185, v52
	v_fmac_f32_e32 v204, 0x3eb8f4ab, v145
	v_add_f32_e32 v40, v41, v40
	v_fmamk_f32 v41, v147, 0x3f65296c, v205
	v_add_f32_e32 v52, v204, v52
	v_fmac_f32_e32 v205, 0xbf65296c, v147
	v_add_f32_e32 v40, v41, v40
	;; [unrolled: 4-line block ×3, first 2 shown]
	v_fmamk_f32 v41, v140, 0xbf7ba420, v207
	v_add_f32_e32 v52, v206, v52
	v_add_f32_e32 v41, v41, v183
	v_mul_f32_e32 v183, 0xbf1a4643, v179
	v_fmamk_f32 v42, v151, 0xbf4c4adb, v183
	v_fmac_f32_e32 v183, 0x3f4c4adb, v151
	v_add_f32_e32 v40, v42, v40
	v_fmamk_f32 v42, v142, 0xbe8c1d8e, v208
	v_add_f32_e32 v52, v183, v52
	v_add_f32_e32 v41, v42, v41
	v_fmamk_f32 v42, v144, 0x3f6eb680, v209
	v_add_f32_e32 v41, v42, v41
	v_fmamk_f32 v42, v146, 0x3ee437d1, v210
	;; [unrolled: 2-line block ×5, first 2 shown]
	v_fmac_f32_e32 v213, 0x3f2c7751, v153
	v_add_f32_e32 v41, v41, v40
	v_fmamk_f32 v40, v152, 0x3f3d2fb0, v214
	v_add_f32_e32 v40, v40, v42
	v_fma_f32 v42, 0xbf1a4643, v163, -v43
	v_fma_f32 v43, 0xbf7ba420, v169, -v47
	v_mul_f32_e32 v47, 0xbf65296c, v143
	v_add_f32_e32 v42, v42, v186
	v_sub_f32_e32 v47, v158, v47
	v_add_f32_e32 v42, v43, v42
	v_fma_f32 v43, 0xbe8c1d8e, v174, -v48
	v_mul_f32_e32 v48, 0x3f3d2fb0, v140
	v_add_f32_e32 v42, v43, v42
	v_add_f32_e32 v43, v111, v44
	v_fma_f32 v44, 0x3f3d2fb0, v176, -v49
	v_mul_f32_e32 v111, 0xbf1a4643, v169
	v_mul_f32_e32 v169, 0xbe8c1d8e, v177
	v_add_f32_e32 v48, v48, v154
	v_add_f32_e32 v43, v112, v43
	;; [unrolled: 1-line block ×3, first 2 shown]
	v_fma_f32 v44, 0x3f6eb680, v177, -v50
	v_fmamk_f32 v45, v143, 0x3f4c4adb, v111
	v_mul_f32_e32 v112, 0xbf7ba420, v174
	v_add_f32_e32 v43, v198, v43
	v_mul_f32_e32 v174, 0x3ee437d1, v179
	v_add_f32_e32 v42, v44, v42
	v_fma_f32 v44, 0x3dbcf732, v179, -v53
	v_mul_f32_e32 v53, 0x3dbcf732, v163
	v_add_f32_e32 v43, v199, v43
	v_mul_f32_e32 v163, 0xbf59a7d5, v176
	v_mul_f32_e32 v176, 0x3f65296c, v178
	v_add_f32_e32 v42, v44, v42
	v_mul_f32_e32 v177, 0x3f6eb680, v181
	v_add_f32_e32 v43, v200, v43
	v_fmamk_f32 v46, v147, 0xbf06c442, v163
	v_mul_f32_e32 v178, 0x3eb8f4ab, v180
	v_mul_f32_e32 v49, 0xbf4c4adb, v149
	v_fmac_f32_e32 v111, 0xbf4c4adb, v143
	v_add_f32_e32 v44, v201, v43
	v_fma_f32 v43, 0xbf59a7d5, v181, -v202
	v_fmac_f32_e32 v163, 0x3f06c442, v147
	v_sub_f32_e32 v49, v168, v49
	v_fma_f32 v143, 0x3f6eb680, v152, -v178
	v_add_f32_e32 v43, v43, v42
	v_add_f32_e32 v42, v203, v44
	v_fmamk_f32 v44, v141, 0x3f7ee86f, v53
	v_fmac_f32_e32 v53, 0xbf7ee86f, v141
	v_add_f32_e32 v44, v44, v187
	v_add_f32_e32 v53, v53, v196
	;; [unrolled: 1-line block ×3, first 2 shown]
	v_fmamk_f32 v45, v145, 0x3e3c28d5, v112
	v_add_f32_e32 v53, v111, v53
	v_fmac_f32_e32 v112, 0xbe3c28d5, v145
	v_fma_f32 v111, 0x3ee437d1, v146, -v210
	v_add_f32_e32 v44, v45, v44
	v_fmamk_f32 v45, v140, 0x3dbcf732, v161
	v_add_f32_e32 v53, v112, v53
	v_fma_f32 v112, 0xbf59a7d5, v146, -v171
	v_add_f32_e32 v44, v46, v44
	v_add_f32_e32 v45, v45, v184
	v_fmamk_f32 v46, v142, 0xbf1a4643, v164
	v_add_f32_e32 v53, v163, v53
	v_add_f32_e32 v45, v46, v45
	v_fmamk_f32 v46, v149, 0xbf763a35, v169
	v_fmac_f32_e32 v169, 0x3f763a35, v149
	v_add_f32_e32 v44, v46, v44
	v_fmamk_f32 v46, v144, 0xbf7ba420, v167
	v_add_f32_e32 v53, v169, v53
	v_add_f32_e32 v45, v46, v45
	v_fmamk_f32 v46, v151, 0xbf65296c, v174
	v_fmac_f32_e32 v174, 0x3f65296c, v151
	v_add_f32_e32 v44, v46, v44
	v_fmamk_f32 v46, v146, 0xbf59a7d5, v171
	v_add_f32_e32 v45, v46, v45
	v_fmamk_f32 v46, v148, 0xbe8c1d8e, v175
	;; [unrolled: 2-line block ×4, first 2 shown]
	v_fmac_f32_e32 v177, 0x3eb8f4ab, v153
	v_add_f32_e32 v45, v45, v44
	v_fmamk_f32 v44, v152, 0x3f6eb680, v178
	v_add_f32_e32 v44, v44, v46
	v_mul_f32_e32 v46, 0xbf2c7751, v141
	v_fma_f32 v141, 0x3f6eb680, v144, -v209
	v_sub_f32_e32 v46, v155, v46
	v_add_f32_e32 v46, v46, v188
	v_add_f32_e32 v46, v47, v46
	v_mul_f32_e32 v47, 0xbf7ee86f, v145
	v_sub_f32_e32 v47, v160, v47
	v_add_f32_e32 v46, v47, v46
	v_mul_f32_e32 v47, 0xbf763a35, v147
	v_sub_f32_e32 v47, v165, v47
	v_add_f32_e32 v46, v47, v46
	v_add_f32_e32 v47, v48, v189
	v_mul_f32_e32 v48, 0x3ee437d1, v142
	v_add_f32_e32 v46, v49, v46
	v_mul_f32_e32 v49, 0xbf06c442, v151
	v_add_f32_e32 v48, v48, v156
	v_sub_f32_e32 v49, v170, v49
	v_add_f32_e32 v47, v48, v47
	v_mul_f32_e32 v48, 0x3dbcf732, v144
	v_add_f32_e32 v46, v49, v46
	v_mul_f32_e32 v49, 0xbe3c28d5, v153
	v_add_f32_e32 v48, v48, v157
	v_sub_f32_e32 v49, v173, v49
	v_add_f32_e32 v47, v48, v47
	v_mul_f32_e32 v48, 0xbe8c1d8e, v146
	v_add_f32_e32 v48, v48, v159
	v_add_f32_e32 v47, v48, v47
	v_mul_f32_e32 v48, 0xbf1a4643, v148
	v_add_f32_e32 v48, v48, v162
	v_add_f32_e32 v47, v48, v47
	v_mul_f32_e32 v48, 0xbf59a7d5, v150
	v_add_f32_e32 v48, v48, v166
	v_add_f32_e32 v48, v48, v47
	v_mul_f32_e32 v47, 0xbf7ba420, v152
	v_add_f32_e32 v50, v47, v172
	v_add_f32_e32 v47, v49, v46
	v_fma_f32 v49, 0x3f6eb680, v140, -v229
	v_add_f32_e32 v46, v50, v48
	v_add_f32_e32 v48, v224, v190
	v_add_f32_e32 v49, v49, v191
	v_fma_f32 v50, 0xbf59a7d5, v142, -v230
	v_add_f32_e32 v48, v225, v48
	v_add_f32_e32 v49, v50, v49
	v_fma_f32 v50, 0x3f3d2fb0, v144, -v231
	v_add_f32_e32 v48, v226, v48
	v_add_f32_e32 v49, v50, v49
	;; [unrolled: 3-line block ×4, first 2 shown]
	v_fma_f32 v50, 0xbe8c1d8e, v150, -v234
	v_add_f32_e32 v48, v54, v48
	v_fma_f32 v54, 0x3dbcf732, v152, -v236
	v_add_f32_e32 v50, v50, v49
	v_add_f32_e32 v49, v235, v48
	;; [unrolled: 1-line block ×4, first 2 shown]
	v_fma_f32 v51, 0xbe8c1d8e, v140, -v218
	v_fma_f32 v54, 0x3f6eb680, v142, -v219
	v_add_f32_e32 v50, v182, v50
	v_add_f32_e32 v51, v51, v193
	;; [unrolled: 1-line block ×4, first 2 shown]
	v_fma_f32 v54, 0xbf59a7d5, v144, -v220
	v_add_f32_e32 v50, v216, v50
	v_add_f32_e32 v51, v54, v51
	v_fma_f32 v54, 0x3dbcf732, v146, -v221
	v_add_f32_e32 v50, v217, v50
	v_add_f32_e32 v51, v54, v51
	v_fma_f32 v54, 0x3f3d2fb0, v148, -v222
	v_add_f32_e32 v50, v55, v50
	v_fma_f32 v55, 0x3ee437d1, v152, -v238
	;; [unrolled: 2-line block ×3, first 2 shown]
	v_add_f32_e32 v54, v54, v51
	v_add_f32_e32 v51, v237, v50
	;; [unrolled: 1-line block ×3, first 2 shown]
	v_fma_f32 v54, 0xbf7ba420, v140, -v207
	v_fma_f32 v55, 0x3dbcf732, v140, -v161
	;; [unrolled: 1-line block ×3, first 2 shown]
	v_add_f32_e32 v54, v54, v195
	v_add_f32_e32 v55, v55, v197
	;; [unrolled: 1-line block ×3, first 2 shown]
	v_fma_f32 v140, 0xbf1a4643, v142, -v164
	v_add_f32_e32 v142, v174, v53
	v_add_f32_e32 v53, v213, v52
	;; [unrolled: 1-line block ×4, first 2 shown]
	v_fma_f32 v140, 0xbf7ba420, v144, -v167
	v_mov_b32_e32 v141, 3
	v_add_f32_e32 v54, v111, v54
	v_fma_f32 v111, 0xbf59a7d5, v148, -v211
	v_add_f32_e32 v55, v140, v55
	v_mul_lo_u16 v140, v120, 17
	v_add_f32_e32 v54, v111, v54
	v_add_f32_e32 v55, v112, v55
	v_fma_f32 v112, 0xbe8c1d8e, v148, -v175
	v_fma_f32 v111, 0xbf1a4643, v150, -v212
	v_lshlrev_b32_sdwa v140, v141, v140 dst_sel:DWORD dst_unused:UNUSED_PAD src0_sel:DWORD src1_sel:WORD_0
	v_add_f32_e32 v55, v112, v55
	v_fma_f32 v112, 0x3ee437d1, v150, -v176
	v_add_f32_e32 v54, v111, v54
	v_fma_f32 v111, 0x3f3d2fb0, v152, -v214
	v_add_f32_e32 v112, v112, v55
	v_add_f32_e32 v55, v177, v142
	;; [unrolled: 1-line block ×4, first 2 shown]
	ds_write2_b64 v140, v[24:25], v[46:47] offset1:1
	ds_write2_b64 v140, v[44:45], v[42:43] offset0:2 offset1:3
	ds_write2_b64 v140, v[40:41], v[38:39] offset0:4 offset1:5
	;; [unrolled: 1-line block ×7, first 2 shown]
	ds_write_b64 v140, v[113:114] offset:128
.LBB0_17:
	s_or_b32 exec_lo, exec_lo, s1
	v_add_nc_u32_e32 v111, 0x800, v121
	s_waitcnt lgkmcnt(0)
	s_barrier
	buffer_gl0_inv
	v_add_nc_u32_e32 v28, 0xc00, v121
	ds_read2_b64 v[24:27], v111 offset0:152 offset1:203
	v_add_nc_u32_e32 v112, 0x1000, v121
	ds_read2_b64 v[28:31], v28 offset0:126 offset1:177
	ds_read2_b64 v[32:35], v112 offset0:100 offset1:151
	ds_read2_b64 v[36:39], v121 offset1:51
	ds_read2_b64 v[40:43], v121 offset0:102 offset1:153
	ds_read2_b64 v[44:47], v121 offset0:204 offset1:255
	ds_read2_b64 v[48:51], v111 offset0:50 offset1:101
	ds_read2_b64 v[52:55], v112 offset0:202 offset1:253
	s_waitcnt lgkmcnt(0)
	s_barrier
	buffer_gl0_inv
	v_mul_f32_e32 v142, v72, v29
	v_mul_f32_e32 v140, v64, v25
	;; [unrolled: 1-line block ×10, first 2 shown]
	v_fmac_f32_e32 v140, v63, v24
	v_fma_f32 v25, v63, v25, -v64
	v_mul_f32_e32 v64, v62, v35
	v_mul_f32_e32 v24, v62, v34
	v_fmac_f32_e32 v141, v69, v26
	v_fma_f32 v27, v69, v27, -v70
	v_fmac_f32_e32 v142, v71, v28
	v_fmac_f32_e32 v144, v65, v32
	v_fma_f32 v62, v65, v33, -v66
	v_mul_f32_e32 v65, v60, v53
	v_mul_f32_e32 v26, v60, v52
	;; [unrolled: 1-line block ×3, first 2 shown]
	v_fma_f32 v63, v71, v29, -v72
	v_fmac_f32_e32 v143, v67, v30
	v_fma_f32 v67, v67, v31, -v68
	v_fmac_f32_e32 v64, v61, v34
	v_fma_f32 v61, v61, v35, -v24
	v_mul_f32_e32 v60, v58, v55
	v_sub_f32_e32 v24, v36, v140
	v_sub_f32_e32 v25, v37, v25
	v_fmac_f32_e32 v65, v59, v52
	v_fma_f32 v52, v59, v53, -v26
	v_fma_f32 v53, v57, v55, -v28
	v_sub_f32_e32 v28, v38, v141
	v_sub_f32_e32 v29, v39, v27
	v_fmac_f32_e32 v60, v57, v54
	v_fma_f32 v26, v36, 2.0, -v24
	v_sub_f32_e32 v30, v40, v142
	v_fma_f32 v27, v37, 2.0, -v25
	v_sub_f32_e32 v31, v41, v63
	v_sub_f32_e32 v36, v42, v143
	;; [unrolled: 1-line block ×3, first 2 shown]
	v_fma_f32 v32, v38, 2.0, -v28
	v_fma_f32 v33, v39, 2.0, -v29
	v_sub_f32_e32 v38, v44, v144
	v_sub_f32_e32 v39, v45, v62
	v_fma_f32 v34, v40, 2.0, -v30
	v_fma_f32 v35, v41, 2.0, -v31
	;; [unrolled: 1-line block ×3, first 2 shown]
	v_sub_f32_e32 v42, v46, v64
	v_fma_f32 v41, v43, 2.0, -v37
	v_sub_f32_e32 v43, v47, v61
	v_sub_f32_e32 v54, v48, v65
	;; [unrolled: 1-line block ×5, first 2 shown]
	v_fma_f32 v44, v44, 2.0, -v38
	v_fma_f32 v45, v45, 2.0, -v39
	;; [unrolled: 1-line block ×8, first 2 shown]
	ds_write2_b64 v130, v[26:27], v[24:25] offset1:17
	ds_write2_b64 v129, v[32:33], v[28:29] offset1:17
	ds_write2_b64 v128, v[34:35], v[30:31] offset1:17
	ds_write2_b64 v127, v[40:41], v[36:37] offset1:17
	ds_write2_b64 v126, v[44:45], v[38:39] offset1:17
	ds_write2_b64 v125, v[46:47], v[42:43] offset1:17
	ds_write2_b64 v124, v[48:49], v[54:55] offset1:17
	ds_write2_b64 v123, v[50:51], v[52:53] offset1:17
	v_add_nc_u32_e32 v24, 0x400, v121
	s_waitcnt lgkmcnt(0)
	s_barrier
	buffer_gl0_inv
	ds_read2_b64 v[32:35], v121 offset1:51
	ds_read2_b64 v[24:27], v24 offset0:76 offset1:144
	ds_read2_b64 v[48:51], v112 offset0:32 offset1:83
	;; [unrolled: 1-line block ×6, first 2 shown]
	ds_read_b64 v[54:55], v121 offset:5984
	s_and_saveexec_b32 s1, s0
	s_cbranch_execz .LBB0_19
; %bb.18:
	ds_read_b64 v[52:53], v121 offset:2040
	ds_read_b64 v[113:114], v121 offset:4216
	;; [unrolled: 1-line block ×3, first 2 shown]
.LBB0_19:
	s_or_b32 exec_lo, exec_lo, s1
	s_waitcnt lgkmcnt(6)
	v_mul_f32_e32 v57, v21, v27
	v_mul_f32_e32 v21, v21, v26
	s_waitcnt lgkmcnt(5)
	v_mul_f32_e32 v58, v23, v49
	v_mul_f32_e32 v23, v23, v48
	s_waitcnt lgkmcnt(0)
	v_fmac_f32_e32 v57, v20, v26
	v_fma_f32 v20, v20, v27, -v21
	v_mul_f32_e32 v21, v13, v45
	v_fmac_f32_e32 v58, v22, v48
	v_mul_f32_e32 v13, v13, v44
	v_fma_f32 v22, v22, v49, -v23
	v_mul_f32_e32 v23, v15, v51
	v_mul_f32_e32 v15, v15, v50
	v_fmac_f32_e32 v21, v12, v44
	v_fma_f32 v12, v12, v45, -v13
	v_mul_f32_e32 v26, v17, v47
	v_fmac_f32_e32 v23, v14, v50
	v_mul_f32_e32 v13, v17, v46
	v_fma_f32 v14, v14, v51, -v15
	v_mul_f32_e32 v17, v19, v41
	v_mul_f32_e32 v15, v19, v40
	;; [unrolled: 1-line block ×4, first 2 shown]
	v_fma_f32 v19, v16, v47, -v13
	v_fmac_f32_e32 v17, v18, v40
	v_fma_f32 v40, v18, v41, -v15
	v_mul_f32_e32 v41, v11, v43
	v_mul_f32_e32 v11, v11, v42
	v_fmac_f32_e32 v27, v8, v36
	v_fma_f32 v36, v8, v37, -v9
	v_mul_f32_e32 v37, v5, v39
	v_fmac_f32_e32 v41, v10, v42
	v_mul_f32_e32 v5, v5, v38
	v_fma_f32 v42, v10, v43, -v11
	v_mul_f32_e32 v43, v7, v55
	v_mul_f32_e32 v7, v7, v54
	v_fmac_f32_e32 v37, v4, v38
	v_fma_f32 v38, v4, v39, -v5
	v_add_f32_e32 v4, v57, v58
	v_add_f32_e32 v5, v32, v57
	v_fma_f32 v39, v6, v55, -v7
	v_add_f32_e32 v7, v20, v22
	v_add_f32_e32 v10, v33, v20
	v_fmac_f32_e32 v43, v6, v54
	v_fma_f32 v4, -0.5, v4, v32
	v_sub_f32_e32 v9, v20, v22
	v_add_f32_e32 v6, v5, v58
	v_fma_f32 v5, -0.5, v7, v33
	v_sub_f32_e32 v11, v57, v58
	v_add_f32_e32 v7, v10, v22
	v_add_f32_e32 v10, v21, v23
	;; [unrolled: 1-line block ×3, first 2 shown]
	v_fmac_f32_e32 v26, v16, v46
	v_fmamk_f32 v8, v9, 0xbf5db3d7, v4
	v_fmac_f32_e32 v4, 0x3f5db3d7, v9
	v_fmamk_f32 v9, v11, 0x3f5db3d7, v5
	v_fmac_f32_e32 v5, 0xbf5db3d7, v11
	v_add_f32_e32 v11, v12, v14
	v_fma_f32 v34, -0.5, v10, v34
	v_sub_f32_e32 v15, v12, v14
	v_add_f32_e32 v10, v13, v23
	v_add_f32_e32 v13, v35, v12
	v_fmac_f32_e32 v35, -0.5, v11
	v_sub_f32_e32 v16, v21, v23
	v_fmamk_f32 v12, v15, 0xbf5db3d7, v34
	v_fmac_f32_e32 v34, 0x3f5db3d7, v15
	v_add_f32_e32 v11, v13, v14
	v_add_f32_e32 v14, v26, v17
	;; [unrolled: 1-line block ×4, first 2 shown]
	v_fmamk_f32 v13, v16, 0x3f5db3d7, v35
	v_fmac_f32_e32 v35, 0xbf5db3d7, v16
	v_fma_f32 v14, -0.5, v14, v28
	v_sub_f32_e32 v20, v19, v40
	v_add_f32_e32 v16, v15, v17
	v_add_f32_e32 v19, v29, v19
	v_fma_f32 v15, -0.5, v18, v29
	v_sub_f32_e32 v21, v26, v17
	v_fmamk_f32 v18, v20, 0xbf5db3d7, v14
	v_fmac_f32_e32 v14, 0x3f5db3d7, v20
	v_add_f32_e32 v17, v19, v40
	v_add_f32_e32 v20, v27, v41
	v_fmamk_f32 v19, v21, 0x3f5db3d7, v15
	v_fmac_f32_e32 v15, 0xbf5db3d7, v21
	v_add_f32_e32 v21, v36, v42
	v_add_f32_e32 v22, v30, v27
	v_fma_f32 v30, -0.5, v20, v30
	v_sub_f32_e32 v23, v36, v42
	v_add_f32_e32 v26, v31, v36
	v_fmac_f32_e32 v31, -0.5, v21
	v_sub_f32_e32 v27, v27, v41
	v_add_f32_e32 v20, v22, v41
	v_fmamk_f32 v22, v23, 0xbf5db3d7, v30
	v_fmac_f32_e32 v30, 0x3f5db3d7, v23
	v_add_f32_e32 v21, v26, v42
	v_add_f32_e32 v26, v37, v43
	v_fmamk_f32 v23, v27, 0x3f5db3d7, v31
	v_fmac_f32_e32 v31, 0xbf5db3d7, v27
	v_add_f32_e32 v27, v38, v39
	v_add_f32_e32 v28, v24, v37
	v_fma_f32 v24, -0.5, v26, v24
	v_sub_f32_e32 v29, v38, v39
	v_add_f32_e32 v32, v25, v38
	v_fmac_f32_e32 v25, -0.5, v27
	v_sub_f32_e32 v33, v37, v43
	v_add_f32_e32 v26, v28, v43
	v_fmamk_f32 v28, v29, 0xbf5db3d7, v24
	v_fmac_f32_e32 v24, 0x3f5db3d7, v29
	v_add_f32_e32 v27, v32, v39
	v_fmamk_f32 v29, v33, 0x3f5db3d7, v25
	v_fmac_f32_e32 v25, 0xbf5db3d7, v33
	s_barrier
	buffer_gl0_inv
	ds_write2_b64 v135, v[6:7], v[8:9] offset1:34
	ds_write_b64 v135, v[4:5] offset:544
	ds_write2_b64 v134, v[10:11], v[12:13] offset1:34
	ds_write_b64 v134, v[34:35] offset:544
	;; [unrolled: 2-line block ×5, first 2 shown]
	s_and_saveexec_b32 s1, s0
	s_cbranch_execz .LBB0_21
; %bb.20:
	v_mul_f32_e32 v4, v1, v113
	v_mul_f32_e32 v5, v3, v77
	;; [unrolled: 1-line block ×4, first 2 shown]
	v_fma_f32 v3, v0, v114, -v4
	v_fma_f32 v4, v2, v78, -v5
	v_fmac_f32_e32 v6, v0, v113
	v_mov_b32_e32 v0, 3
	v_fmac_f32_e32 v7, v2, v77
	v_add_f32_e32 v5, v53, v3
	v_add_f32_e32 v1, v3, v4
	v_sub_f32_e32 v9, v3, v4
	v_lshlrev_b32_sdwa v8, v0, v122 dst_sel:DWORD dst_unused:UNUSED_PAD src0_sel:DWORD src1_sel:WORD_0
	v_add_f32_e32 v0, v6, v7
	v_sub_f32_e32 v2, v6, v7
	v_fma_f32 v1, -0.5, v1, v53
	v_add_f32_e32 v6, v52, v6
	v_add_f32_e32 v3, v5, v4
	v_fma_f32 v0, -0.5, v0, v52
	v_fmamk_f32 v5, v2, 0xbf5db3d7, v1
	v_fmac_f32_e32 v1, 0x3f5db3d7, v2
	v_add_f32_e32 v2, v6, v7
	v_fmamk_f32 v4, v9, 0x3f5db3d7, v0
	v_add_nc_u32_e32 v6, 0x1000, v8
	v_fmac_f32_e32 v0, 0xbf5db3d7, v9
	ds_write2_b64 v6, v[2:3], v[0:1] offset0:202 offset1:236
	ds_write_b64 v8, v[4:5] offset:6256
.LBB0_21:
	s_or_b32 exec_lo, exec_lo, s1
	v_add_nc_u32_e32 v0, 0x800, v121
	s_waitcnt lgkmcnt(0)
	s_barrier
	buffer_gl0_inv
	v_add_nc_u32_e32 v33, 0xc00, v121
	ds_read2_b64 v[1:4], v0 offset0:152 offset1:203
	v_add_nc_u32_e32 v34, 0x1000, v121
	ds_read2_b64 v[5:8], v33 offset0:126 offset1:177
	ds_read2_b64 v[9:12], v34 offset0:100 offset1:151
	ds_read2_b64 v[13:16], v121 offset1:51
	ds_read2_b64 v[17:20], v121 offset0:102 offset1:153
	ds_read2_b64 v[21:24], v121 offset0:204 offset1:255
	;; [unrolled: 1-line block ×4, first 2 shown]
	s_waitcnt lgkmcnt(0)
	s_barrier
	buffer_gl0_inv
	v_mul_f32_e32 v39, v74, v6
	v_mul_f32_e32 v35, v74, v2
	;; [unrolled: 1-line block ×8, first 2 shown]
	v_fmac_f32_e32 v35, v73, v1
	v_fma_f32 v2, v73, v2, -v36
	v_mul_f32_e32 v1, v86, v11
	v_mul_f32_e32 v44, v84, v9
	;; [unrolled: 1-line block ×3, first 2 shown]
	v_fmac_f32_e32 v37, v75, v3
	v_fma_f32 v4, v75, v4, -v38
	v_fmac_f32_e32 v39, v73, v5
	v_mul_f32_e32 v5, v80, v31
	v_fma_f32 v36, v73, v6, -v40
	v_fmac_f32_e32 v41, v75, v7
	v_mul_f32_e32 v38, v86, v12
	v_fma_f32 v40, v75, v8, -v42
	v_fma_f32 v45, v85, v12, -v1
	v_mul_f32_e32 v3, v82, v29
	v_sub_f32_e32 v1, v13, v35
	v_sub_f32_e32 v2, v14, v2
	v_fma_f32 v42, v83, v10, -v44
	v_mul_f32_e32 v44, v82, v30
	v_mul_f32_e32 v46, v80, v32
	v_fmac_f32_e32 v43, v83, v9
	v_fma_f32 v32, v79, v32, -v5
	v_sub_f32_e32 v5, v15, v37
	v_sub_f32_e32 v6, v16, v4
	v_fmac_f32_e32 v38, v85, v11
	v_fma_f32 v30, v81, v30, -v3
	v_fma_f32 v3, v13, 2.0, -v1
	v_sub_f32_e32 v7, v17, v39
	v_fma_f32 v4, v14, 2.0, -v2
	v_sub_f32_e32 v8, v18, v36
	v_sub_f32_e32 v13, v19, v41
	;; [unrolled: 1-line block ×3, first 2 shown]
	v_fmac_f32_e32 v44, v81, v29
	v_fmac_f32_e32 v46, v79, v31
	v_fma_f32 v9, v15, 2.0, -v5
	v_fma_f32 v10, v16, 2.0, -v6
	v_sub_f32_e32 v15, v21, v43
	v_sub_f32_e32 v16, v22, v42
	v_fma_f32 v11, v17, 2.0, -v7
	v_fma_f32 v12, v18, 2.0, -v8
	;; [unrolled: 1-line block ×3, first 2 shown]
	v_sub_f32_e32 v19, v23, v38
	v_fma_f32 v18, v20, 2.0, -v14
	v_sub_f32_e32 v20, v24, v45
	v_sub_f32_e32 v29, v25, v44
	;; [unrolled: 1-line block ×5, first 2 shown]
	v_fma_f32 v21, v21, 2.0, -v15
	v_fma_f32 v22, v22, 2.0, -v16
	ds_write2_b64 v121, v[3:4], v[9:10] offset1:51
	ds_write2_b64 v121, v[1:2], v[5:6] offset0:102 offset1:153
	ds_write2_b64 v121, v[11:12], v[17:18] offset0:204 offset1:255
	v_add_nc_u32_e32 v1, 0x800, v138
	v_fma_f32 v23, v23, 2.0, -v19
	v_fma_f32 v24, v24, 2.0, -v20
	v_add_nc_u32_e32 v2, 0x800, v139
	v_fma_f32 v25, v25, 2.0, -v29
	v_fma_f32 v26, v26, 2.0, -v30
	;; [unrolled: 3-line block ×3, first 2 shown]
	v_add_nc_u32_e32 v4, 0x1000, v136
	ds_write2_b64 v0, v[7:8], v[13:14] offset0:50 offset1:101
	ds_write2_b64 v1, v[21:22], v[15:16] offset0:152 offset1:254
	;; [unrolled: 1-line block ×5, first 2 shown]
	s_waitcnt lgkmcnt(0)
	s_barrier
	buffer_gl0_inv
	ds_read2_b64 v[1:4], v0 offset0:152 offset1:203
	ds_read2_b64 v[5:8], v33 offset0:126 offset1:177
	ds_read2_b64 v[9:12], v121 offset1:51
	ds_read2_b64 v[13:16], v34 offset0:100 offset1:151
	ds_read2_b64 v[17:20], v121 offset0:102 offset1:153
	;; [unrolled: 1-line block ×5, first 2 shown]
	s_waitcnt lgkmcnt(0)
	s_barrier
	buffer_gl0_inv
	v_mul_f32_e32 v35, v94, v2
	v_mul_f32_e32 v36, v94, v1
	;; [unrolled: 1-line block ×5, first 2 shown]
	v_fmac_f32_e32 v35, v93, v1
	v_mul_f32_e32 v1, v92, v3
	v_fma_f32 v2, v93, v2, -v36
	v_mul_f32_e32 v36, v88, v6
	v_fmac_f32_e32 v37, v91, v3
	v_mul_f32_e32 v3, v94, v13
	v_fma_f32 v4, v91, v4, -v1
	v_mul_f32_e32 v1, v90, v7
	v_fmac_f32_e32 v36, v87, v5
	v_fma_f32 v38, v87, v6, -v38
	v_fmac_f32_e32 v39, v89, v7
	v_mul_f32_e32 v40, v94, v14
	v_mul_f32_e32 v41, v92, v16
	v_fma_f32 v42, v89, v8, -v1
	v_mul_f32_e32 v1, v92, v15
	v_mul_f32_e32 v5, v90, v31
	v_fma_f32 v43, v93, v14, -v3
	v_mul_f32_e32 v44, v88, v30
	v_mul_f32_e32 v3, v88, v29
	;; [unrolled: 1-line block ×3, first 2 shown]
	v_fmac_f32_e32 v40, v93, v13
	v_fmac_f32_e32 v41, v91, v15
	v_fma_f32 v45, v91, v16, -v1
	v_sub_f32_e32 v1, v9, v35
	v_fma_f32 v32, v89, v32, -v5
	v_sub_f32_e32 v2, v10, v2
	v_sub_f32_e32 v5, v11, v37
	;; [unrolled: 1-line block ×7, first 2 shown]
	v_fmac_f32_e32 v44, v87, v29
	v_fma_f32 v30, v87, v30, -v3
	v_fmac_f32_e32 v46, v89, v31
	v_fma_f32 v3, v9, 2.0, -v1
	v_fma_f32 v4, v10, 2.0, -v2
	;; [unrolled: 1-line block ×6, first 2 shown]
	v_sub_f32_e32 v15, v21, v40
	v_sub_f32_e32 v16, v22, v43
	v_fma_f32 v17, v19, 2.0, -v13
	v_sub_f32_e32 v19, v23, v41
	v_fma_f32 v18, v20, 2.0, -v14
	v_sub_f32_e32 v20, v24, v45
	v_sub_f32_e32 v29, v25, v44
	;; [unrolled: 1-line block ×5, first 2 shown]
	v_fma_f32 v21, v21, 2.0, -v15
	v_fma_f32 v22, v22, 2.0, -v16
	v_fma_f32 v23, v23, 2.0, -v19
	v_fma_f32 v24, v24, 2.0, -v20
	v_fma_f32 v25, v25, 2.0, -v29
	v_fma_f32 v26, v26, 2.0, -v30
	v_fma_f32 v27, v27, 2.0, -v31
	v_fma_f32 v28, v28, 2.0, -v32
	ds_write2_b64 v121, v[3:4], v[9:10] offset1:51
	ds_write2_b64 v121, v[1:2], v[5:6] offset0:204 offset1:255
	ds_write2_b64 v121, v[11:12], v[17:18] offset0:102 offset1:153
	ds_write2_b64 v0, v[7:8], v[13:14] offset0:50 offset1:101
	ds_write2_b64 v0, v[21:22], v[23:24] offset0:152 offset1:203
	ds_write2_b64 v34, v[15:16], v[19:20] offset0:100 offset1:151
	ds_write2_b64 v33, v[25:26], v[27:28] offset0:126 offset1:177
	ds_write2_b64 v34, v[29:30], v[31:32] offset0:202 offset1:253
	s_waitcnt lgkmcnt(0)
	s_barrier
	buffer_gl0_inv
	ds_read2_b64 v[1:4], v0 offset0:152 offset1:203
	ds_read2_b64 v[5:8], v33 offset0:126 offset1:177
	ds_read2_b64 v[9:12], v121 offset1:51
	ds_read2_b64 v[13:16], v34 offset0:100 offset1:151
	ds_read2_b64 v[17:20], v121 offset0:102 offset1:153
	;; [unrolled: 1-line block ×5, first 2 shown]
	s_waitcnt lgkmcnt(7)
	v_mul_f32_e32 v35, v104, v2
	v_mul_f32_e32 v36, v104, v1
	v_mul_f32_e32 v37, v110, v4
	s_waitcnt lgkmcnt(6)
	v_mul_f32_e32 v38, v108, v5
	v_mul_f32_e32 v39, v98, v8
	v_fmac_f32_e32 v35, v103, v1
	v_mul_f32_e32 v1, v110, v3
	v_fma_f32 v2, v103, v2, -v36
	v_mul_f32_e32 v36, v108, v6
	v_fmac_f32_e32 v37, v109, v3
	s_waitcnt lgkmcnt(4)
	v_mul_f32_e32 v3, v100, v13
	v_fma_f32 v4, v109, v4, -v1
	v_mul_f32_e32 v1, v98, v7
	v_fmac_f32_e32 v36, v107, v5
	v_fma_f32 v38, v107, v6, -v38
	v_fmac_f32_e32 v39, v97, v7
	v_mul_f32_e32 v40, v100, v14
	v_mul_f32_e32 v41, v106, v16
	v_fma_f32 v42, v97, v8, -v1
	v_mul_f32_e32 v1, v106, v15
	s_waitcnt lgkmcnt(0)
	v_mul_f32_e32 v5, v102, v31
	v_fma_f32 v43, v99, v14, -v3
	v_mul_f32_e32 v44, v96, v30
	v_mul_f32_e32 v3, v96, v29
	;; [unrolled: 1-line block ×3, first 2 shown]
	v_fmac_f32_e32 v40, v99, v13
	v_fmac_f32_e32 v41, v105, v15
	v_fma_f32 v45, v105, v16, -v1
	v_sub_f32_e32 v1, v9, v35
	v_fma_f32 v32, v101, v32, -v5
	v_sub_f32_e32 v2, v10, v2
	v_sub_f32_e32 v5, v11, v37
	;; [unrolled: 1-line block ×7, first 2 shown]
	v_fmac_f32_e32 v44, v95, v29
	v_fma_f32 v30, v95, v30, -v3
	v_fmac_f32_e32 v46, v101, v31
	v_fma_f32 v3, v9, 2.0, -v1
	v_fma_f32 v4, v10, 2.0, -v2
	;; [unrolled: 1-line block ×6, first 2 shown]
	v_sub_f32_e32 v15, v21, v40
	v_sub_f32_e32 v16, v22, v43
	v_fma_f32 v17, v19, 2.0, -v13
	v_sub_f32_e32 v19, v23, v41
	v_fma_f32 v18, v20, 2.0, -v14
	v_sub_f32_e32 v20, v24, v45
	v_sub_f32_e32 v29, v25, v44
	;; [unrolled: 1-line block ×5, first 2 shown]
	v_fma_f32 v21, v21, 2.0, -v15
	v_fma_f32 v22, v22, 2.0, -v16
	;; [unrolled: 1-line block ×8, first 2 shown]
	ds_write2_b64 v121, v[3:4], v[9:10] offset1:51
	ds_write2_b64 v0, v[1:2], v[5:6] offset0:152 offset1:203
	ds_write2_b64 v121, v[11:12], v[17:18] offset0:102 offset1:153
	;; [unrolled: 1-line block ×7, first 2 shown]
	s_waitcnt lgkmcnt(0)
	s_barrier
	buffer_gl0_inv
	s_and_b32 exec_lo, exec_lo, vcc_lo
	s_cbranch_execz .LBB0_23
; %bb.22:
	global_load_dwordx2 v[0:1], v116, s[12:13]
	ds_read_b64 v[2:3], v121
	s_mov_b32 s0, 0x14141414
	s_mov_b32 s1, 0x3f541414
	v_mad_u64_u32 v[6:7], null, s4, v120, 0
	s_mul_i32 s2, s5, 0x180
	s_mul_i32 s3, s4, 0x180
	s_mul_hi_u32 s8, s4, 0x300
	v_add_nc_u32_e32 v15, 0x800, v116
	s_waitcnt vmcnt(0) lgkmcnt(0)
	v_mul_f32_e32 v4, v3, v1
	v_mul_f32_e32 v1, v2, v1
	v_fmac_f32_e32 v4, v2, v0
	v_fma_f32 v2, v0, v3, -v1
	v_cvt_f64_f32_e32 v[0:1], v4
	v_cvt_f64_f32_e32 v[2:3], v2
	v_mad_u64_u32 v[4:5], null, s6, v56, 0
	s_mul_hi_u32 s6, s4, 0x180
	s_add_i32 s2, s6, s2
	v_add_co_u32 v13, s6, s12, v116
	v_add_co_ci_u32_e64 v14, null, s13, 0, s6
	v_mad_u64_u32 v[8:9], null, s7, v56, v[5:6]
	s_mul_i32 s6, s5, 0x300
	s_mul_i32 s7, s4, 0x300
	s_add_i32 s6, s8, s6
	v_mad_u64_u32 v[9:10], null, s5, v120, v[7:8]
	v_mov_b32_e32 v5, v8
	v_mul_f64 v[0:1], v[0:1], s[0:1]
	v_mul_f64 v[2:3], v[2:3], s[0:1]
	v_mov_b32_e32 v7, v9
	v_cvt_f32_f64_e32 v0, v[0:1]
	v_cvt_f32_f64_e32 v1, v[2:3]
	v_lshlrev_b64 v[2:3], 3, v[4:5]
	v_lshlrev_b64 v[4:5], 3, v[6:7]
	v_add_co_u32 v11, vcc_lo, s14, v2
	v_add_co_ci_u32_e32 v12, vcc_lo, s15, v3, vcc_lo
	v_add_co_u32 v4, vcc_lo, v11, v4
	v_add_co_ci_u32_e32 v5, vcc_lo, v12, v5, vcc_lo
	global_store_dwordx2 v[4:5], v[0:1], off
	global_load_dwordx2 v[6:7], v116, s[12:13] offset:384
	ds_read2_b64 v[0:3], v116 offset0:48 offset1:96
	v_add_co_u32 v4, vcc_lo, v4, s3
	v_add_co_ci_u32_e32 v5, vcc_lo, s2, v5, vcc_lo
	s_waitcnt vmcnt(0) lgkmcnt(0)
	v_mul_f32_e32 v8, v1, v7
	v_mul_f32_e32 v7, v0, v7
	v_fmac_f32_e32 v8, v0, v6
	v_fma_f32 v6, v6, v1, -v7
	v_cvt_f64_f32_e32 v[0:1], v8
	v_cvt_f64_f32_e32 v[6:7], v6
	v_mul_f64 v[0:1], v[0:1], s[0:1]
	v_mul_f64 v[6:7], v[6:7], s[0:1]
	v_cvt_f32_f64_e32 v0, v[0:1]
	v_cvt_f32_f64_e32 v1, v[6:7]
	global_store_dwordx2 v[4:5], v[0:1], off
	global_load_dwordx2 v[0:1], v116, s[12:13] offset:768
	v_add_co_u32 v4, vcc_lo, v4, s3
	v_add_co_ci_u32_e32 v5, vcc_lo, s2, v5, vcc_lo
	s_waitcnt vmcnt(0)
	v_mul_f32_e32 v6, v3, v1
	v_mul_f32_e32 v1, v2, v1
	v_fmac_f32_e32 v6, v2, v0
	v_fma_f32 v2, v0, v3, -v1
	v_cvt_f64_f32_e32 v[0:1], v6
	v_cvt_f64_f32_e32 v[2:3], v2
	v_mul_f64 v[0:1], v[0:1], s[0:1]
	v_mul_f64 v[2:3], v[2:3], s[0:1]
	v_cvt_f32_f64_e32 v0, v[0:1]
	v_cvt_f32_f64_e32 v1, v[2:3]
	global_store_dwordx2 v[4:5], v[0:1], off
	global_load_dwordx2 v[6:7], v116, s[12:13] offset:1152
	ds_read2_b64 v[0:3], v116 offset0:144 offset1:192
	v_add_co_u32 v4, vcc_lo, v4, s3
	v_add_co_ci_u32_e32 v5, vcc_lo, s2, v5, vcc_lo
	s_waitcnt vmcnt(0) lgkmcnt(0)
	v_mul_f32_e32 v8, v1, v7
	v_mul_f32_e32 v7, v0, v7
	v_fmac_f32_e32 v8, v0, v6
	v_fma_f32 v6, v6, v1, -v7
	v_cvt_f64_f32_e32 v[0:1], v8
	v_cvt_f64_f32_e32 v[6:7], v6
	v_mul_f64 v[0:1], v[0:1], s[0:1]
	v_mul_f64 v[6:7], v[6:7], s[0:1]
	v_cvt_f32_f64_e32 v0, v[0:1]
	v_cvt_f32_f64_e32 v1, v[6:7]
	global_store_dwordx2 v[4:5], v[0:1], off
	global_load_dwordx2 v[0:1], v116, s[12:13] offset:1536
	s_waitcnt vmcnt(0)
	v_mul_f32_e32 v6, v3, v1
	v_mul_f32_e32 v1, v2, v1
	v_fmac_f32_e32 v6, v2, v0
	v_fma_f32 v2, v0, v3, -v1
	v_cvt_f64_f32_e32 v[0:1], v6
	v_cvt_f64_f32_e32 v[2:3], v2
	v_mad_u64_u32 v[6:7], null, s4, v119, 0
	v_mad_u64_u32 v[7:8], null, s5, v119, v[7:8]
	v_mul_f64 v[0:1], v[0:1], s[0:1]
	v_mul_f64 v[2:3], v[2:3], s[0:1]
	v_cvt_f32_f64_e32 v0, v[0:1]
	v_cvt_f32_f64_e32 v1, v[2:3]
	v_lshlrev_b64 v[2:3], 3, v[6:7]
	v_add_co_u32 v2, vcc_lo, v11, v2
	v_add_co_ci_u32_e32 v3, vcc_lo, v12, v3, vcc_lo
	v_add_co_u32 v4, vcc_lo, v4, s7
	v_add_co_ci_u32_e32 v5, vcc_lo, s6, v5, vcc_lo
	global_store_dwordx2 v[2:3], v[0:1], off
	global_load_dwordx2 v[6:7], v116, s[12:13] offset:1920
	v_add_nc_u32_e32 v0, 0x400, v116
	ds_read2_b64 v[0:3], v0 offset0:112 offset1:160
	s_waitcnt vmcnt(0) lgkmcnt(0)
	v_mul_f32_e32 v8, v1, v7
	v_mul_f32_e32 v7, v0, v7
	v_fmac_f32_e32 v8, v0, v6
	v_fma_f32 v6, v6, v1, -v7
	v_cvt_f64_f32_e32 v[0:1], v8
	v_cvt_f64_f32_e32 v[6:7], v6
	v_mul_f64 v[0:1], v[0:1], s[0:1]
	v_mul_f64 v[6:7], v[6:7], s[0:1]
	v_cvt_f32_f64_e32 v0, v[0:1]
	v_cvt_f32_f64_e32 v1, v[6:7]
	v_add_co_u32 v6, vcc_lo, 0x800, v13
	v_add_co_ci_u32_e32 v7, vcc_lo, 0, v14, vcc_lo
	global_store_dwordx2 v[4:5], v[0:1], off
	global_load_dwordx2 v[0:1], v[6:7], off offset:256
	v_add_co_u32 v4, vcc_lo, v4, s3
	v_add_co_ci_u32_e32 v5, vcc_lo, s2, v5, vcc_lo
	s_waitcnt vmcnt(0)
	v_mul_f32_e32 v8, v3, v1
	v_mul_f32_e32 v1, v2, v1
	v_fmac_f32_e32 v8, v2, v0
	v_fma_f32 v2, v0, v3, -v1
	v_cvt_f64_f32_e32 v[0:1], v8
	v_cvt_f64_f32_e32 v[2:3], v2
	v_mul_f64 v[0:1], v[0:1], s[0:1]
	v_mul_f64 v[2:3], v[2:3], s[0:1]
	v_cvt_f32_f64_e32 v0, v[0:1]
	v_cvt_f32_f64_e32 v1, v[2:3]
	global_store_dwordx2 v[4:5], v[0:1], off
	global_load_dwordx2 v[8:9], v[6:7], off offset:640
	ds_read2_b64 v[0:3], v15 offset0:80 offset1:128
	v_add_co_u32 v4, vcc_lo, v4, s3
	v_add_co_ci_u32_e32 v5, vcc_lo, s2, v5, vcc_lo
	s_waitcnt vmcnt(0) lgkmcnt(0)
	v_mul_f32_e32 v10, v1, v9
	v_mul_f32_e32 v9, v0, v9
	v_fmac_f32_e32 v10, v0, v8
	v_fma_f32 v8, v8, v1, -v9
	v_cvt_f64_f32_e32 v[0:1], v10
	v_cvt_f64_f32_e32 v[8:9], v8
	v_mul_f64 v[0:1], v[0:1], s[0:1]
	v_mul_f64 v[8:9], v[8:9], s[0:1]
	v_cvt_f32_f64_e32 v0, v[0:1]
	v_cvt_f32_f64_e32 v1, v[8:9]
	v_lshlrev_b32_e32 v8, 3, v118
	global_store_dwordx2 v[4:5], v[0:1], off
	global_load_dwordx2 v[0:1], v8, s[12:13]
	s_waitcnt vmcnt(0)
	v_mul_f32_e32 v8, v3, v1
	v_mul_f32_e32 v1, v2, v1
	v_fmac_f32_e32 v8, v2, v0
	v_fma_f32 v2, v0, v3, -v1
	v_cvt_f64_f32_e32 v[0:1], v8
	v_cvt_f64_f32_e32 v[2:3], v2
	v_mad_u64_u32 v[8:9], null, s4, v118, 0
	v_mad_u64_u32 v[9:10], null, s5, v118, v[9:10]
	v_mul_f64 v[0:1], v[0:1], s[0:1]
	v_mul_f64 v[2:3], v[2:3], s[0:1]
	v_cvt_f32_f64_e32 v0, v[0:1]
	v_cvt_f32_f64_e32 v1, v[2:3]
	v_lshlrev_b64 v[2:3], 3, v[8:9]
	v_add_co_u32 v2, vcc_lo, v11, v2
	v_add_co_ci_u32_e32 v3, vcc_lo, v12, v3, vcc_lo
	v_add_co_u32 v4, vcc_lo, v4, s7
	v_add_co_ci_u32_e32 v5, vcc_lo, s6, v5, vcc_lo
	global_store_dwordx2 v[2:3], v[0:1], off
	global_load_dwordx2 v[8:9], v[6:7], off offset:1408
	ds_read2_b64 v[0:3], v15 offset0:176 offset1:224
	s_waitcnt vmcnt(0) lgkmcnt(0)
	v_mul_f32_e32 v10, v1, v9
	v_mul_f32_e32 v9, v0, v9
	v_fmac_f32_e32 v10, v0, v8
	v_fma_f32 v8, v8, v1, -v9
	v_cvt_f64_f32_e32 v[0:1], v10
	v_cvt_f64_f32_e32 v[8:9], v8
	v_mul_f64 v[0:1], v[0:1], s[0:1]
	v_mul_f64 v[8:9], v[8:9], s[0:1]
	v_cvt_f32_f64_e32 v0, v[0:1]
	v_cvt_f32_f64_e32 v1, v[8:9]
	global_store_dwordx2 v[4:5], v[0:1], off
	global_load_dwordx2 v[0:1], v[6:7], off offset:1792
	v_add_co_u32 v4, vcc_lo, v4, s3
	v_add_co_ci_u32_e32 v5, vcc_lo, s2, v5, vcc_lo
	s_waitcnt vmcnt(0)
	v_mul_f32_e32 v6, v3, v1
	v_mul_f32_e32 v1, v2, v1
	v_fmac_f32_e32 v6, v2, v0
	v_fma_f32 v2, v0, v3, -v1
	v_cvt_f64_f32_e32 v[0:1], v6
	v_cvt_f64_f32_e32 v[2:3], v2
	v_add_co_u32 v6, vcc_lo, 0x1000, v13
	v_add_co_ci_u32_e32 v7, vcc_lo, 0, v14, vcc_lo
	v_add_nc_u32_e32 v13, 0x1000, v116
	v_mul_f64 v[0:1], v[0:1], s[0:1]
	v_mul_f64 v[2:3], v[2:3], s[0:1]
	v_cvt_f32_f64_e32 v0, v[0:1]
	v_cvt_f32_f64_e32 v1, v[2:3]
	global_store_dwordx2 v[4:5], v[0:1], off
	global_load_dwordx2 v[8:9], v[6:7], off offset:128
	ds_read2_b64 v[0:3], v13 offset0:16 offset1:64
	v_add_co_u32 v4, vcc_lo, v4, s3
	v_add_co_ci_u32_e32 v5, vcc_lo, s2, v5, vcc_lo
	s_waitcnt vmcnt(0) lgkmcnt(0)
	v_mul_f32_e32 v10, v1, v9
	v_mul_f32_e32 v9, v0, v9
	v_fmac_f32_e32 v10, v0, v8
	v_fma_f32 v8, v8, v1, -v9
	v_cvt_f64_f32_e32 v[0:1], v10
	v_cvt_f64_f32_e32 v[8:9], v8
	v_mul_f64 v[0:1], v[0:1], s[0:1]
	v_mul_f64 v[8:9], v[8:9], s[0:1]
	v_cvt_f32_f64_e32 v0, v[0:1]
	v_cvt_f32_f64_e32 v1, v[8:9]
	v_lshlrev_b32_e32 v8, 3, v117
	global_store_dwordx2 v[4:5], v[0:1], off
	global_load_dwordx2 v[0:1], v8, s[12:13]
	s_waitcnt vmcnt(0)
	v_mul_f32_e32 v8, v3, v1
	v_mul_f32_e32 v1, v2, v1
	v_fmac_f32_e32 v8, v2, v0
	v_fma_f32 v2, v0, v3, -v1
	v_cvt_f64_f32_e32 v[0:1], v8
	v_cvt_f64_f32_e32 v[2:3], v2
	v_mad_u64_u32 v[8:9], null, s4, v117, 0
	v_mad_u64_u32 v[9:10], null, s5, v117, v[9:10]
	v_mul_f64 v[0:1], v[0:1], s[0:1]
	v_mul_f64 v[2:3], v[2:3], s[0:1]
	v_cvt_f32_f64_e32 v0, v[0:1]
	v_cvt_f32_f64_e32 v1, v[2:3]
	v_lshlrev_b64 v[2:3], 3, v[8:9]
	v_add_co_u32 v2, vcc_lo, v11, v2
	v_add_co_ci_u32_e32 v3, vcc_lo, v12, v3, vcc_lo
	v_add_co_u32 v4, vcc_lo, v4, s7
	v_add_co_ci_u32_e32 v5, vcc_lo, s6, v5, vcc_lo
	global_store_dwordx2 v[2:3], v[0:1], off
	global_load_dwordx2 v[8:9], v[6:7], off offset:896
	ds_read2_b64 v[0:3], v13 offset0:112 offset1:160
	s_waitcnt vmcnt(0) lgkmcnt(0)
	v_mul_f32_e32 v10, v1, v9
	v_mul_f32_e32 v9, v0, v9
	v_fmac_f32_e32 v10, v0, v8
	v_fma_f32 v8, v8, v1, -v9
	v_cvt_f64_f32_e32 v[0:1], v10
	v_cvt_f64_f32_e32 v[8:9], v8
	v_mul_f64 v[0:1], v[0:1], s[0:1]
	v_mul_f64 v[8:9], v[8:9], s[0:1]
	v_cvt_f32_f64_e32 v0, v[0:1]
	v_cvt_f32_f64_e32 v1, v[8:9]
	global_store_dwordx2 v[4:5], v[0:1], off
	global_load_dwordx2 v[0:1], v[6:7], off offset:1280
	v_add_co_u32 v4, vcc_lo, v4, s3
	v_add_co_ci_u32_e32 v5, vcc_lo, s2, v5, vcc_lo
	s_waitcnt vmcnt(0)
	v_mul_f32_e32 v8, v3, v1
	v_mul_f32_e32 v1, v2, v1
	v_fmac_f32_e32 v8, v2, v0
	v_fma_f32 v2, v0, v3, -v1
	v_cvt_f64_f32_e32 v[0:1], v8
	v_cvt_f64_f32_e32 v[2:3], v2
	v_mul_f64 v[0:1], v[0:1], s[0:1]
	v_mul_f64 v[2:3], v[2:3], s[0:1]
	v_cvt_f32_f64_e32 v0, v[0:1]
	v_cvt_f32_f64_e32 v1, v[2:3]
	global_store_dwordx2 v[4:5], v[0:1], off
	global_load_dwordx2 v[6:7], v[6:7], off offset:1664
	v_add_nc_u32_e32 v0, 0x1400, v116
	v_add_co_u32 v4, vcc_lo, v4, s3
	v_add_co_ci_u32_e32 v5, vcc_lo, s2, v5, vcc_lo
	ds_read2_b64 v[0:3], v0 offset0:80 offset1:128
	s_waitcnt vmcnt(0) lgkmcnt(0)
	v_mul_f32_e32 v8, v1, v7
	v_mul_f32_e32 v7, v0, v7
	v_fmac_f32_e32 v8, v0, v6
	v_fma_f32 v6, v6, v1, -v7
	v_cvt_f64_f32_e32 v[0:1], v8
	v_cvt_f64_f32_e32 v[6:7], v6
	v_mul_f64 v[0:1], v[0:1], s[0:1]
	v_mul_f64 v[6:7], v[6:7], s[0:1]
	v_cvt_f32_f64_e32 v0, v[0:1]
	v_cvt_f32_f64_e32 v1, v[6:7]
	v_lshlrev_b32_e32 v6, 3, v115
	global_store_dwordx2 v[4:5], v[0:1], off
	global_load_dwordx2 v[0:1], v6, s[12:13]
	s_waitcnt vmcnt(0)
	v_mul_f32_e32 v4, v3, v1
	v_mul_f32_e32 v1, v2, v1
	v_fmac_f32_e32 v4, v2, v0
	v_fma_f32 v2, v0, v3, -v1
	v_cvt_f64_f32_e32 v[0:1], v4
	v_cvt_f64_f32_e32 v[2:3], v2
	v_mad_u64_u32 v[4:5], null, s4, v115, 0
	v_mad_u64_u32 v[5:6], null, s5, v115, v[5:6]
	v_mul_f64 v[0:1], v[0:1], s[0:1]
	v_mul_f64 v[2:3], v[2:3], s[0:1]
	v_cvt_f32_f64_e32 v0, v[0:1]
	v_cvt_f32_f64_e32 v1, v[2:3]
	v_lshlrev_b64 v[2:3], 3, v[4:5]
	v_add_co_u32 v2, vcc_lo, v11, v2
	v_add_co_ci_u32_e32 v3, vcc_lo, v12, v3, vcc_lo
	global_store_dwordx2 v[2:3], v[0:1], off
.LBB0_23:
	s_endpgm
	.section	.rodata,"a",@progbits
	.p2align	6, 0x0
	.amdhsa_kernel bluestein_single_back_len816_dim1_sp_op_CI_CI
		.amdhsa_group_segment_fixed_size 6528
		.amdhsa_private_segment_fixed_size 0
		.amdhsa_kernarg_size 104
		.amdhsa_user_sgpr_count 6
		.amdhsa_user_sgpr_private_segment_buffer 1
		.amdhsa_user_sgpr_dispatch_ptr 0
		.amdhsa_user_sgpr_queue_ptr 0
		.amdhsa_user_sgpr_kernarg_segment_ptr 1
		.amdhsa_user_sgpr_dispatch_id 0
		.amdhsa_user_sgpr_flat_scratch_init 0
		.amdhsa_user_sgpr_private_segment_size 0
		.amdhsa_wavefront_size32 1
		.amdhsa_uses_dynamic_stack 0
		.amdhsa_system_sgpr_private_segment_wavefront_offset 0
		.amdhsa_system_sgpr_workgroup_id_x 1
		.amdhsa_system_sgpr_workgroup_id_y 0
		.amdhsa_system_sgpr_workgroup_id_z 0
		.amdhsa_system_sgpr_workgroup_info 0
		.amdhsa_system_vgpr_workitem_id 0
		.amdhsa_next_free_vgpr 239
		.amdhsa_next_free_sgpr 17
		.amdhsa_reserve_vcc 1
		.amdhsa_reserve_flat_scratch 0
		.amdhsa_float_round_mode_32 0
		.amdhsa_float_round_mode_16_64 0
		.amdhsa_float_denorm_mode_32 3
		.amdhsa_float_denorm_mode_16_64 3
		.amdhsa_dx10_clamp 1
		.amdhsa_ieee_mode 1
		.amdhsa_fp16_overflow 0
		.amdhsa_workgroup_processor_mode 1
		.amdhsa_memory_ordered 1
		.amdhsa_forward_progress 0
		.amdhsa_shared_vgpr_count 0
		.amdhsa_exception_fp_ieee_invalid_op 0
		.amdhsa_exception_fp_denorm_src 0
		.amdhsa_exception_fp_ieee_div_zero 0
		.amdhsa_exception_fp_ieee_overflow 0
		.amdhsa_exception_fp_ieee_underflow 0
		.amdhsa_exception_fp_ieee_inexact 0
		.amdhsa_exception_int_div_zero 0
	.end_amdhsa_kernel
	.text
.Lfunc_end0:
	.size	bluestein_single_back_len816_dim1_sp_op_CI_CI, .Lfunc_end0-bluestein_single_back_len816_dim1_sp_op_CI_CI
                                        ; -- End function
	.section	.AMDGPU.csdata,"",@progbits
; Kernel info:
; codeLenInByte = 22064
; NumSgprs: 19
; NumVgprs: 239
; ScratchSize: 0
; MemoryBound: 0
; FloatMode: 240
; IeeeMode: 1
; LDSByteSize: 6528 bytes/workgroup (compile time only)
; SGPRBlocks: 2
; VGPRBlocks: 29
; NumSGPRsForWavesPerEU: 19
; NumVGPRsForWavesPerEU: 239
; Occupancy: 4
; WaveLimiterHint : 1
; COMPUTE_PGM_RSRC2:SCRATCH_EN: 0
; COMPUTE_PGM_RSRC2:USER_SGPR: 6
; COMPUTE_PGM_RSRC2:TRAP_HANDLER: 0
; COMPUTE_PGM_RSRC2:TGID_X_EN: 1
; COMPUTE_PGM_RSRC2:TGID_Y_EN: 0
; COMPUTE_PGM_RSRC2:TGID_Z_EN: 0
; COMPUTE_PGM_RSRC2:TIDIG_COMP_CNT: 0
	.text
	.p2alignl 6, 3214868480
	.fill 48, 4, 3214868480
	.type	__hip_cuid_7b1b3bde20185833,@object ; @__hip_cuid_7b1b3bde20185833
	.section	.bss,"aw",@nobits
	.globl	__hip_cuid_7b1b3bde20185833
__hip_cuid_7b1b3bde20185833:
	.byte	0                               ; 0x0
	.size	__hip_cuid_7b1b3bde20185833, 1

	.ident	"AMD clang version 19.0.0git (https://github.com/RadeonOpenCompute/llvm-project roc-6.4.0 25133 c7fe45cf4b819c5991fe208aaa96edf142730f1d)"
	.section	".note.GNU-stack","",@progbits
	.addrsig
	.addrsig_sym __hip_cuid_7b1b3bde20185833
	.amdgpu_metadata
---
amdhsa.kernels:
  - .args:
      - .actual_access:  read_only
        .address_space:  global
        .offset:         0
        .size:           8
        .value_kind:     global_buffer
      - .actual_access:  read_only
        .address_space:  global
        .offset:         8
        .size:           8
        .value_kind:     global_buffer
      - .actual_access:  read_only
        .address_space:  global
        .offset:         16
        .size:           8
        .value_kind:     global_buffer
      - .actual_access:  read_only
        .address_space:  global
        .offset:         24
        .size:           8
        .value_kind:     global_buffer
      - .actual_access:  read_only
        .address_space:  global
        .offset:         32
        .size:           8
        .value_kind:     global_buffer
      - .offset:         40
        .size:           8
        .value_kind:     by_value
      - .address_space:  global
        .offset:         48
        .size:           8
        .value_kind:     global_buffer
      - .address_space:  global
        .offset:         56
        .size:           8
        .value_kind:     global_buffer
      - .address_space:  global
        .offset:         64
        .size:           8
        .value_kind:     global_buffer
      - .address_space:  global
        .offset:         72
        .size:           8
        .value_kind:     global_buffer
      - .offset:         80
        .size:           4
        .value_kind:     by_value
      - .address_space:  global
        .offset:         88
        .size:           8
        .value_kind:     global_buffer
      - .address_space:  global
        .offset:         96
        .size:           8
        .value_kind:     global_buffer
    .group_segment_fixed_size: 6528
    .kernarg_segment_align: 8
    .kernarg_segment_size: 104
    .language:       OpenCL C
    .language_version:
      - 2
      - 0
    .max_flat_workgroup_size: 51
    .name:           bluestein_single_back_len816_dim1_sp_op_CI_CI
    .private_segment_fixed_size: 0
    .sgpr_count:     19
    .sgpr_spill_count: 0
    .symbol:         bluestein_single_back_len816_dim1_sp_op_CI_CI.kd
    .uniform_work_group_size: 1
    .uses_dynamic_stack: false
    .vgpr_count:     239
    .vgpr_spill_count: 0
    .wavefront_size: 32
    .workgroup_processor_mode: 1
amdhsa.target:   amdgcn-amd-amdhsa--gfx1030
amdhsa.version:
  - 1
  - 2
...

	.end_amdgpu_metadata
